;; amdgpu-corpus repo=zjin-lcf/HeCBench kind=compiled arch=gfx1100 opt=O3
	.text
	.amdgcn_target "amdgcn-amd-amdhsa--gfx1100"
	.amdhsa_code_object_version 6
	.p2align	2                               ; -- Begin function _Z13ht_get_atomicP6loc_ht9cstr_typej
	.type	_Z13ht_get_atomicP6loc_ht9cstr_typej,@function
_Z13ht_get_atomicP6loc_ht9cstr_typej:   ; @_Z13ht_get_atomicP6loc_ht9cstr_typej
; %bb.0:
	s_waitcnt vmcnt(0) expcnt(0) lgkmcnt(0)
	v_dual_mov_b32 v6, v5 :: v_dual_and_b32 v9, 3, v2
	v_cmp_gt_i32_e64 s1, 4, v4
	v_xor_b32_e32 v5, 0x3fb0bb5f, v4
	v_cmp_lt_i32_e32 vcc_lo, 3, v4
	s_delay_alu instid0(VALU_DEP_4) | instskip(NEXT) | instid1(VALU_DEP_1)
	v_cmp_eq_u32_e64 s0, 0, v9
	s_or_b32 s0, s0, s1
	s_delay_alu instid0(SALU_CYCLE_1) | instskip(NEXT) | instid1(SALU_CYCLE_1)
	s_and_saveexec_b32 s1, s0
	s_xor_b32 s1, exec_lo, s1
	s_cbranch_execz .LBB0_10
; %bb.1:
	v_dual_mov_b32 v9, v4 :: v_dual_mov_b32 v8, v3
	v_mov_b32_e32 v7, v2
	s_and_saveexec_b32 s2, vcc_lo
	s_cbranch_execz .LBB0_5
; %bb.2:
	v_dual_mov_b32 v9, v4 :: v_dual_mov_b32 v8, v3
	v_mov_b32_e32 v7, v2
	s_mov_b32 s3, 0
	.p2align	6
.LBB0_3:                                ; =>This Inner Loop Header: Depth=1
	flat_load_b32 v10, v[7:8]
	v_mul_lo_u32 v5, 0x5bd1e995, v5
	v_add_co_u32 v7, vcc_lo, v7, 4
	v_cmp_gt_u32_e64 s0, 8, v9
	v_add_co_ci_u32_e32 v8, vcc_lo, 0, v8, vcc_lo
	v_add_nc_u32_e32 v9, -4, v9
	s_delay_alu instid0(VALU_DEP_3) | instskip(SKIP_2) | instid1(VALU_DEP_1)
	s_or_b32 s3, s0, s3
	s_waitcnt vmcnt(0) lgkmcnt(0)
	v_mul_lo_u32 v10, 0x5bd1e995, v10
	v_lshrrev_b32_e32 v11, 24, v10
	s_delay_alu instid0(VALU_DEP_1) | instskip(NEXT) | instid1(VALU_DEP_1)
	v_xor_b32_e32 v10, v11, v10
	v_mul_lo_u32 v10, 0x5bd1e995, v10
	s_delay_alu instid0(VALU_DEP_1)
	v_xor_b32_e32 v5, v10, v5
	s_and_not1_b32 exec_lo, exec_lo, s3
	s_cbranch_execnz .LBB0_3
; %bb.4:
	s_or_b32 exec_lo, exec_lo, s3
.LBB0_5:
	s_delay_alu instid0(SALU_CYCLE_1)
	s_or_b32 exec_lo, exec_lo, s2
	s_mov_b32 s0, 0
	s_mov_b32 s2, exec_lo
	v_cmpx_lt_i32_e32 1, v9
	s_xor_b32 s2, exec_lo, s2
	s_cbranch_execnz .LBB0_462
; %bb.6:
	s_and_not1_saveexec_b32 s2, s2
	s_cbranch_execnz .LBB0_465
.LBB0_7:
	s_or_b32 exec_lo, exec_lo, s2
	s_and_saveexec_b32 s2, s0
	s_cbranch_execz .LBB0_9
.LBB0_8:
	flat_load_u8 v7, v[7:8]
	s_waitcnt vmcnt(0) lgkmcnt(0)
	v_xor_b32_e32 v5, v5, v7
	s_delay_alu instid0(VALU_DEP_1)
	v_mul_lo_u32 v5, 0x5bd1e995, v5
.LBB0_9:
	s_or_b32 exec_lo, exec_lo, s2
                                        ; implicit-def: $vgpr9
.LBB0_10:
	s_and_not1_saveexec_b32 s1, s1
	s_cbranch_execz .LBB0_36
; %bb.11:
	v_mov_b32_e32 v7, 0
	s_mov_b32 s0, exec_lo
	v_cmpx_gt_i32_e32 3, v9
	s_cbranch_execz .LBB0_15
; %bb.12:
	v_mov_b32_e32 v7, 0
	s_mov_b32 s2, exec_lo
	v_cmpx_ne_u32_e32 2, v9
	s_cbranch_execz .LBB0_14
; %bb.13:
	flat_load_u8 v7, v[2:3] offset:2
	s_waitcnt vmcnt(0) lgkmcnt(0)
	v_lshlrev_b32_e32 v7, 16, v7
.LBB0_14:
	s_or_b32 exec_lo, exec_lo, s2
	flat_load_u8 v8, v[2:3] offset:1
	s_waitcnt vmcnt(0) lgkmcnt(0)
	v_lshl_or_b32 v7, v8, 8, v7
.LBB0_15:
	s_or_b32 exec_lo, exec_lo, s0
	flat_load_u8 v8, v[2:3]
	v_sub_nc_u32_e32 v11, 4, v9
	v_lshlrev_b32_e32 v10, 3, v9
	s_mov_b32 s2, exec_lo
	s_delay_alu instid0(VALU_DEP_2)
	v_sub_nc_u32_e32 v13, v4, v11
	s_waitcnt vmcnt(0) lgkmcnt(0)
	v_or_b32_e32 v12, v7, v8
	v_add_co_u32 v7, vcc_lo, v2, v11
	v_add_co_ci_u32_e32 v8, vcc_lo, 0, v3, vcc_lo
	v_lshlrev_b32_e32 v11, 3, v11
	s_delay_alu instid0(VALU_DEP_4)
	v_lshlrev_b32_e32 v12, v10, v12
	v_cmpx_lt_u32_e32 3, v13
	s_cbranch_execz .LBB0_19
; %bb.16:
	v_add_nc_u32_e32 v13, v4, v9
	s_mov_b32 s3, 0
	.p2align	6
.LBB0_17:                               ; =>This Inner Loop Header: Depth=1
	flat_load_b32 v14, v[7:8]
	v_lshrrev_b32_e32 v12, v10, v12
	v_mov_b32_e32 v15, v13
	v_mul_lo_u32 v5, 0x5bd1e995, v5
	v_add_co_u32 v7, vcc_lo, v7, 4
	v_add_co_ci_u32_e32 v8, vcc_lo, 0, v8, vcc_lo
	s_waitcnt vmcnt(0) lgkmcnt(0)
	v_lshl_or_b32 v12, v14, v11, v12
	s_delay_alu instid0(VALU_DEP_1) | instskip(NEXT) | instid1(VALU_DEP_1)
	v_mul_lo_u32 v12, 0x5bd1e995, v12
	v_lshrrev_b32_e32 v16, 24, v12
	s_delay_alu instid0(VALU_DEP_1) | instskip(NEXT) | instid1(VALU_DEP_1)
	v_xor_b32_e32 v12, v16, v12
	v_mul_lo_u32 v16, 0x5bd1e995, v12
	v_dual_mov_b32 v12, v14 :: v_dual_add_nc_u32 v13, -4, v15
	s_delay_alu instid0(VALU_DEP_1) | instskip(NEXT) | instid1(VALU_DEP_3)
	v_cmp_gt_u32_e64 s0, 8, v13
	v_xor_b32_e32 v5, v16, v5
	s_delay_alu instid0(VALU_DEP_2) | instskip(NEXT) | instid1(SALU_CYCLE_1)
	s_or_b32 s3, s0, s3
	s_and_not1_b32 exec_lo, exec_lo, s3
	s_cbranch_execnz .LBB0_17
; %bb.18:
	s_or_b32 exec_lo, exec_lo, s3
	v_dual_mov_b32 v12, v14 :: v_dual_add_nc_u32 v13, -8, v15
.LBB0_19:
	s_or_b32 exec_lo, exec_lo, s2
	s_delay_alu instid0(SALU_CYCLE_1) | instskip(NEXT) | instid1(VALU_DEP_1)
	s_mov_b32 s0, exec_lo
	v_cmpx_ge_i32_e64 v13, v9
	s_xor_b32 s0, exec_lo, s0
	s_cbranch_execz .LBB0_29
; %bb.20:
	s_mov_b32 s2, 0
	s_mov_b32 s3, exec_lo
                                        ; implicit-def: $vgpr14
	v_cmpx_lt_i32_e32 2, v9
	s_xor_b32 s3, exec_lo, s3
	s_cbranch_execnz .LBB0_466
; %bb.21:
	s_or_saveexec_b32 s3, s3
                                        ; implicit-def: $sgpr4
	s_delay_alu instid0(SALU_CYCLE_1)
	s_xor_b32 exec_lo, exec_lo, s3
	s_cbranch_execnz .LBB0_467
.LBB0_22:
	s_or_b32 exec_lo, exec_lo, s3
	v_mov_b32_e32 v15, s4
	s_and_saveexec_b32 s3, s2
	s_cbranch_execz .LBB0_24
.LBB0_23:
	flat_load_u8 v15, v[7:8] offset:1
	s_waitcnt vmcnt(0) lgkmcnt(0)
	v_lshl_or_b32 v15, v15, 8, v14
.LBB0_24:
	s_or_b32 exec_lo, exec_lo, s3
	flat_load_u8 v14, v[7:8]
	v_lshrrev_b32_e32 v10, v10, v12
	v_mul_lo_u32 v5, 0x5bd1e995, v5
	v_sub_nc_u32_e32 v9, v13, v9
	s_mov_b32 s2, 0
	s_mov_b32 s3, exec_lo
	s_waitcnt vmcnt(0) lgkmcnt(0)
	v_or_b32_e32 v12, v15, v14
	s_delay_alu instid0(VALU_DEP_1) | instskip(NEXT) | instid1(VALU_DEP_1)
	v_lshl_or_b32 v10, v12, v11, v10
	v_mul_lo_u32 v10, 0x5bd1e995, v10
	s_delay_alu instid0(VALU_DEP_1) | instskip(NEXT) | instid1(VALU_DEP_1)
	v_lshrrev_b32_e32 v11, 24, v10
	v_xor_b32_e32 v10, v11, v10
	v_and_b32_e32 v11, 3, v2
	s_delay_alu instid0(VALU_DEP_2) | instskip(NEXT) | instid1(VALU_DEP_2)
	v_mul_lo_u32 v10, 0x5bd1e995, v10
	v_add_co_u32 v7, vcc_lo, v7, v11
	v_add_co_ci_u32_e32 v8, vcc_lo, 0, v8, vcc_lo
	s_delay_alu instid0(VALU_DEP_3)
	v_xor_b32_e32 v5, v10, v5
	v_cmpx_lt_i32_e32 1, v9
	s_xor_b32 s3, exec_lo, s3
	s_cbranch_execnz .LBB0_468
; %bb.25:
	s_and_not1_saveexec_b32 s3, s3
	s_cbranch_execnz .LBB0_471
.LBB0_26:
	s_or_b32 exec_lo, exec_lo, s3
	s_and_saveexec_b32 s3, s2
	s_cbranch_execz .LBB0_28
.LBB0_27:
	flat_load_u8 v7, v[7:8]
	s_waitcnt vmcnt(0) lgkmcnt(0)
	v_xor_b32_e32 v5, v5, v7
	s_delay_alu instid0(VALU_DEP_1)
	v_mul_lo_u32 v5, 0x5bd1e995, v5
.LBB0_28:
	s_or_b32 exec_lo, exec_lo, s3
                                        ; implicit-def: $vgpr10
                                        ; implicit-def: $vgpr12
                                        ; implicit-def: $vgpr11
                                        ; implicit-def: $vgpr13
                                        ; implicit-def: $vgpr7_vgpr8
.LBB0_29:
	s_and_not1_saveexec_b32 s0, s0
	s_cbranch_execz .LBB0_35
; %bb.30:
	s_mov_b32 s2, 0
	s_mov_b32 s3, exec_lo
                                        ; implicit-def: $vgpr9
	v_cmpx_lt_i32_e32 1, v13
	s_xor_b32 s3, exec_lo, s3
	s_cbranch_execnz .LBB0_472
; %bb.31:
	s_and_not1_saveexec_b32 s3, s3
	s_cbranch_execnz .LBB0_473
.LBB0_32:
	s_or_b32 exec_lo, exec_lo, s3
	s_and_saveexec_b32 s3, s2
	s_cbranch_execz .LBB0_34
.LBB0_33:
	flat_load_u8 v7, v[7:8]
	s_waitcnt vmcnt(0) lgkmcnt(0)
	v_or_b32_e32 v13, v9, v7
.LBB0_34:
	s_or_b32 exec_lo, exec_lo, s3
	v_lshrrev_b32_e32 v7, v10, v12
	s_delay_alu instid0(VALU_DEP_1) | instskip(NEXT) | instid1(VALU_DEP_1)
	v_lshl_or_b32 v7, v13, v11, v7
	v_xor_b32_e32 v5, v7, v5
	s_delay_alu instid0(VALU_DEP_1)
	v_mul_lo_u32 v5, 0x5bd1e995, v5
.LBB0_35:
	s_or_b32 exec_lo, exec_lo, s0
.LBB0_36:
	s_delay_alu instid0(SALU_CYCLE_1) | instskip(SKIP_1) | instid1(VALU_DEP_2)
	s_or_b32 exec_lo, exec_lo, s1
	v_cvt_f32_u32_e32 v7, v6
	v_lshrrev_b32_e32 v8, 13, v5
	v_sub_nc_u32_e32 v9, 0, v6
	s_getpc_b64 s[2:3]
	s_add_u32 s2, s2, .str.2@rel32@lo+4
	s_addc_u32 s3, s3, .str.2@rel32@hi+12
	v_cmp_lt_i32_e64 s0, 0, v4
	v_rcp_iflag_f32_e32 v7, v7
	v_xor_b32_e32 v5, v8, v5
	v_mbcnt_lo_u32_b32 v37, -1, 0
	v_mov_b32_e32 v11, 33
	s_cmp_lg_u64 s[2:3], 0
	s_mov_b32 s4, 0
	v_mul_lo_u32 v5, 0x5bd1e995, v5
	s_cselect_b32 s20, -1, 0
                                        ; implicit-def: $vgpr48
	v_mov_b32_e32 v34, 0
	s_waitcnt_depctr 0xfff
	v_dual_mov_b32 v10, 1 :: v_dual_mul_f32 v7, 0x4f7ffffe, v7
	s_delay_alu instid0(VALU_DEP_1) | instskip(NEXT) | instid1(VALU_DEP_1)
	v_cvt_u32_f32_e32 v7, v7
	v_mul_lo_u32 v8, v9, v7
	v_lshrrev_b32_e32 v9, 15, v5
	s_delay_alu instid0(VALU_DEP_1) | instskip(NEXT) | instid1(VALU_DEP_3)
	v_xor_b32_e32 v5, v9, v5
	v_mul_hi_u32 v8, v7, v8
	s_delay_alu instid0(VALU_DEP_1) | instskip(SKIP_1) | instid1(VALU_DEP_2)
	v_dual_mov_b32 v8, 0 :: v_dual_add_nc_u32 v7, v7, v8
	v_mov_b32_e32 v9, 2
	v_mul_hi_u32 v7, v5, v7
	s_delay_alu instid0(VALU_DEP_3) | instskip(NEXT) | instid1(VALU_DEP_2)
	v_mov_b32_e32 v14, v8
	v_mul_lo_u32 v7, v7, v6
	s_delay_alu instid0(VALU_DEP_1) | instskip(NEXT) | instid1(VALU_DEP_1)
	v_sub_nc_u32_e32 v5, v5, v7
	v_sub_nc_u32_e32 v7, v5, v6
	v_cmp_ge_u32_e32 vcc_lo, v5, v6
	s_delay_alu instid0(VALU_DEP_2) | instskip(NEXT) | instid1(VALU_DEP_1)
	v_cndmask_b32_e32 v5, v5, v7, vcc_lo
	v_sub_nc_u32_e32 v7, v5, v6
	v_cmp_ge_u32_e32 vcc_lo, v5, v6
	s_delay_alu instid0(VALU_DEP_2) | instskip(NEXT) | instid1(VALU_DEP_1)
	v_dual_cndmask_b32 v38, v5, v7 :: v_dual_mov_b32 v5, -1
	v_mov_b32_e32 v7, v38
	s_branch .LBB0_38
.LBB0_37:                               ;   in Loop: Header=BB0_38 Depth=1
                                        ; implicit-def: $vgpr48
                                        ; implicit-def: $vgpr14
                                        ; implicit-def: $vgpr7
	s_cbranch_execnz .LBB0_461
.LBB0_38:                               ; =>This Loop Header: Depth=1
                                        ;     Child Loop BB0_48 Depth 2
                                        ;     Child Loop BB0_61 Depth 2
	;; [unrolled: 1-line block ×10, first 2 shown]
                                        ;       Child Loop BB0_90 Depth 3
                                        ;       Child Loop BB0_97 Depth 3
	;; [unrolled: 1-line block ×11, first 2 shown]
                                        ;     Child Loop BB0_194 Depth 2
                                        ;     Child Loop BB0_202 Depth 2
	;; [unrolled: 1-line block ×9, first 2 shown]
                                        ;       Child Loop BB0_223 Depth 3
                                        ;       Child Loop BB0_230 Depth 3
	;; [unrolled: 1-line block ×11, first 2 shown]
                                        ;     Child Loop BB0_327 Depth 2
                                        ;     Child Loop BB0_335 Depth 2
	;; [unrolled: 1-line block ×9, first 2 shown]
                                        ;       Child Loop BB0_356 Depth 3
                                        ;       Child Loop BB0_363 Depth 3
	;; [unrolled: 1-line block ×11, first 2 shown]
	s_delay_alu instid0(VALU_DEP_1) | instskip(SKIP_1) | instid1(VALU_DEP_1)
	v_dual_mov_b32 v12, v14 :: v_dual_mov_b32 v39, v7
	;;#ASMSTART
	;;#ASMEND
	v_cmp_ne_u32_e32 vcc_lo, 0, v12
	s_cmp_eq_u32 vcc_lo, exec_lo
	s_cbranch_scc1 .LBB0_37
; %bb.39:                               ;   in Loop: Header=BB0_38 Depth=1
	v_cmp_eq_u32_e32 vcc_lo, 0, v14
	s_and_saveexec_b32 s2, vcc_lo
	s_cbranch_execz .LBB0_43
; %bb.40:                               ;   in Loop: Header=BB0_38 Depth=1
	v_mad_u64_u32 v[12:13], null, v7, 56, v[0:1]
	s_mov_b32 s3, exec_lo
	flat_atomic_cmpswap_b32 v48, v[12:13], v[4:5] offset:8 glc
	s_waitcnt vmcnt(0) lgkmcnt(0)
	v_cmpx_eq_u32_e32 -1, v48
; %bb.41:                               ;   in Loop: Header=BB0_38 Depth=1
	s_mov_b32 s7, s4
	s_mov_b32 s5, s4
	;; [unrolled: 1-line block ×3, first 2 shown]
	s_delay_alu instid0(SALU_CYCLE_1)
	v_dual_mov_b32 v18, s7 :: v_dual_mov_b32 v17, s6
	v_mov_b32_e32 v48, -1
	v_dual_mov_b32 v16, s5 :: v_dual_mov_b32 v15, s4
	s_clause 0x3
	flat_store_b64 v[12:13], v[2:3]
	flat_store_b128 v[12:13], v[15:18] offset:16
	flat_store_b128 v[12:13], v[15:18] offset:32
	;; [unrolled: 1-line block ×3, first 2 shown]
; %bb.42:                               ;   in Loop: Header=BB0_38 Depth=1
	s_or_b32 exec_lo, exec_lo, s3
.LBB0_43:                               ;   in Loop: Header=BB0_38 Depth=1
	s_delay_alu instid0(SALU_CYCLE_1)
	s_or_b32 exec_lo, exec_lo, s2
	s_and_saveexec_b32 s2, vcc_lo
	s_cbranch_execz .LBB0_55
; %bb.44:                               ;   in Loop: Header=BB0_38 Depth=1
	v_mov_b32_e32 v14, 1
	s_mov_b32 s3, exec_lo
	v_cmpx_ne_u32_e32 -1, v48
	s_cbranch_execz .LBB0_54
; %bb.45:                               ;   in Loop: Header=BB0_38 Depth=1
	v_mad_u64_u32 v[12:13], null, v7, 56, v[0:1]
	s_mov_b32 s6, -1
                                        ; implicit-def: $sgpr1
	flat_load_b32 v16, v[12:13] offset:8
	s_waitcnt vmcnt(0) lgkmcnt(0)
	v_cmp_ne_u32_e32 vcc_lo, -1, v16
	s_and_b32 s7, vcc_lo, s0
	s_delay_alu instid0(SALU_CYCLE_1)
	s_and_saveexec_b32 s5, s7
	s_cbranch_execz .LBB0_51
; %bb.46:                               ;   in Loop: Header=BB0_38 Depth=1
	flat_load_b64 v[12:13], v[12:13]
	v_dual_mov_b32 v15, v3 :: v_dual_mov_b32 v14, v2
	v_mov_b32_e32 v17, v4
	s_mov_b32 s6, 0
                                        ; implicit-def: $sgpr7
                                        ; implicit-def: $sgpr11
                                        ; implicit-def: $sgpr10
	s_set_inst_prefetch_distance 0x1
	s_branch .LBB0_48
	.p2align	6
.LBB0_47:                               ;   in Loop: Header=BB0_48 Depth=2
	s_or_b32 exec_lo, exec_lo, s12
	s_xor_b32 s1, s10, -1
	s_and_b32 s12, exec_lo, s11
	s_delay_alu instid0(SALU_CYCLE_1) | instskip(SKIP_2) | instid1(SALU_CYCLE_1)
	s_or_b32 s6, s12, s6
	s_and_not1_b32 s7, s7, exec_lo
	s_and_b32 s1, s1, exec_lo
	s_or_b32 s7, s7, s1
	s_and_not1_b32 exec_lo, exec_lo, s6
	s_cbranch_execz .LBB0_50
.LBB0_48:                               ;   Parent Loop BB0_38 Depth=1
                                        ; =>  This Inner Loop Header: Depth=2
	s_waitcnt vmcnt(0) lgkmcnt(0)
	flat_load_u8 v18, v[12:13]
	flat_load_u8 v19, v[14:15]
	s_or_b32 s10, s10, exec_lo
	s_or_b32 s11, s11, exec_lo
	s_mov_b32 s12, exec_lo
	s_waitcnt vmcnt(0) lgkmcnt(0)
	v_cmpx_eq_u16_e64 v18, v19
	s_cbranch_execz .LBB0_47
; %bb.49:                               ;   in Loop: Header=BB0_48 Depth=2
	v_add_nc_u32_e32 v17, -1, v17
	v_add_co_u32 v14, vcc_lo, v14, 1
	v_add_co_ci_u32_e32 v15, vcc_lo, 0, v15, vcc_lo
	s_delay_alu instid0(VALU_DEP_3) | instskip(SKIP_1) | instid1(VALU_DEP_1)
	v_cmp_eq_u32_e32 vcc_lo, 0, v17
	v_add_co_u32 v12, s1, v12, 1
	v_add_co_ci_u32_e64 v13, s1, 0, v13, s1
	s_and_not1_b32 s1, s11, exec_lo
	s_and_b32 s11, vcc_lo, exec_lo
	s_and_not1_b32 s10, s10, exec_lo
	s_or_b32 s11, s1, s11
	s_branch .LBB0_47
.LBB0_50:                               ;   in Loop: Header=BB0_38 Depth=1
	s_set_inst_prefetch_distance 0x2
	s_or_b32 exec_lo, exec_lo, s6
	s_mov_b32 s1, 0
	s_or_not1_b32 s6, s7, exec_lo
.LBB0_51:                               ;   in Loop: Header=BB0_38 Depth=1
	s_or_b32 exec_lo, exec_lo, s5
	s_and_saveexec_b32 s5, s6
; %bb.52:                               ;   in Loop: Header=BB0_38 Depth=1
	v_cmp_eq_u32_e32 vcc_lo, v16, v4
	s_and_not1_b32 s1, s1, exec_lo
	s_and_b32 s6, vcc_lo, exec_lo
	s_delay_alu instid0(SALU_CYCLE_1)
	s_or_b32 s1, s1, s6
; %bb.53:                               ;   in Loop: Header=BB0_38 Depth=1
	s_or_b32 exec_lo, exec_lo, s5
	v_cndmask_b32_e64 v14, 0, 1, s1
.LBB0_54:                               ;   in Loop: Header=BB0_38 Depth=1
	s_or_b32 exec_lo, exec_lo, s3
.LBB0_55:                               ;   in Loop: Header=BB0_38 Depth=1
	s_delay_alu instid0(SALU_CYCLE_1) | instskip(NEXT) | instid1(VALU_DEP_1)
	s_or_b32 exec_lo, exec_lo, s2
	v_mov_b32_e32 v12, v14
	;;#ASMSTART
	;;#ASMEND
	s_delay_alu instid0(VALU_DEP_1)
	v_cmp_ne_u32_e32 vcc_lo, 0, v12
	s_cmp_eq_u32 vcc_lo, exec_lo
	s_cbranch_scc1 .LBB0_37
; %bb.56:                               ;   in Loop: Header=BB0_38 Depth=1
	s_mov_b32 s1, exec_lo
	v_cmpx_eq_u32_e32 0, v14
	s_xor_b32 s21, exec_lo, s1
	s_cbranch_execz .LBB0_460
; %bb.57:                               ;   in Loop: Header=BB0_38 Depth=1
	v_dual_mov_b32 v14, 0 :: v_dual_add_nc_u32 v7, 1, v7
	s_mov_b32 s22, exec_lo
	s_delay_alu instid0(VALU_DEP_1) | instskip(SKIP_1) | instid1(VALU_DEP_1)
	v_cmp_ne_u32_e32 vcc_lo, v7, v6
	v_cndmask_b32_e32 v7, 0, v7, vcc_lo
	v_cmpx_eq_u32_e64 v7, v38
	s_cbranch_execz .LBB0_459
; %bb.58:                               ;   in Loop: Header=BB0_38 Depth=1
	s_load_b64 s[2:3], s[8:9], 0x50
	v_readfirstlane_b32 s1, v37
	v_mov_b32_e32 v12, 0
	v_mov_b32_e32 v13, 0
	s_delay_alu instid0(VALU_DEP_3) | instskip(NEXT) | instid1(VALU_DEP_1)
	v_cmp_eq_u32_e64 s1, s1, v37
	s_and_saveexec_b32 s5, s1
	s_cbranch_execz .LBB0_64
; %bb.59:                               ;   in Loop: Header=BB0_38 Depth=1
	s_waitcnt lgkmcnt(0)
	global_load_b64 v[14:15], v34, s[2:3] offset:24 glc
	s_waitcnt vmcnt(0)
	buffer_gl1_inv
	buffer_gl0_inv
	s_clause 0x1
	global_load_b64 v[12:13], v34, s[2:3] offset:40
	global_load_b64 v[16:17], v34, s[2:3]
	s_mov_b32 s6, exec_lo
	s_waitcnt vmcnt(1)
	v_and_b32_e32 v7, v13, v15
	v_and_b32_e32 v12, v12, v14
	s_delay_alu instid0(VALU_DEP_2) | instskip(NEXT) | instid1(VALU_DEP_2)
	v_mul_lo_u32 v7, v7, 24
	v_mul_hi_u32 v13, v12, 24
	v_mul_lo_u32 v12, v12, 24
	s_delay_alu instid0(VALU_DEP_2) | instskip(SKIP_1) | instid1(VALU_DEP_2)
	v_add_nc_u32_e32 v7, v13, v7
	s_waitcnt vmcnt(0)
	v_add_co_u32 v12, vcc_lo, v16, v12
	s_delay_alu instid0(VALU_DEP_2)
	v_add_co_ci_u32_e32 v13, vcc_lo, v17, v7, vcc_lo
	global_load_b64 v[12:13], v[12:13], off glc
	s_waitcnt vmcnt(0)
	global_atomic_cmpswap_b64 v[12:13], v34, v[12:15], s[2:3] offset:24 glc
	s_waitcnt vmcnt(0)
	buffer_gl1_inv
	buffer_gl0_inv
	v_cmpx_ne_u64_e64 v[12:13], v[14:15]
	s_cbranch_execz .LBB0_63
; %bb.60:                               ;   in Loop: Header=BB0_38 Depth=1
	s_mov_b32 s7, 0
	.p2align	6
.LBB0_61:                               ;   Parent Loop BB0_38 Depth=1
                                        ; =>  This Inner Loop Header: Depth=2
	s_sleep 1
	s_clause 0x1
	global_load_b64 v[16:17], v34, s[2:3] offset:40
	global_load_b64 v[18:19], v34, s[2:3]
	v_dual_mov_b32 v15, v13 :: v_dual_mov_b32 v14, v12
	s_waitcnt vmcnt(1)
	s_delay_alu instid0(VALU_DEP_1) | instskip(SKIP_1) | instid1(VALU_DEP_1)
	v_and_b32_e32 v7, v16, v14
	s_waitcnt vmcnt(0)
	v_mad_u64_u32 v[12:13], null, v7, 24, v[18:19]
	v_and_b32_e32 v18, v17, v15
	s_delay_alu instid0(VALU_DEP_2) | instskip(NEXT) | instid1(VALU_DEP_1)
	v_mov_b32_e32 v7, v13
	v_mad_u64_u32 v[16:17], null, v18, 24, v[7:8]
	s_delay_alu instid0(VALU_DEP_1)
	v_mov_b32_e32 v13, v16
	global_load_b64 v[12:13], v[12:13], off glc
	s_waitcnt vmcnt(0)
	global_atomic_cmpswap_b64 v[12:13], v34, v[12:15], s[2:3] offset:24 glc
	s_waitcnt vmcnt(0)
	buffer_gl1_inv
	buffer_gl0_inv
	v_cmp_eq_u64_e32 vcc_lo, v[12:13], v[14:15]
	s_or_b32 s7, vcc_lo, s7
	s_delay_alu instid0(SALU_CYCLE_1)
	s_and_not1_b32 exec_lo, exec_lo, s7
	s_cbranch_execnz .LBB0_61
; %bb.62:                               ;   in Loop: Header=BB0_38 Depth=1
	s_or_b32 exec_lo, exec_lo, s7
.LBB0_63:                               ;   in Loop: Header=BB0_38 Depth=1
	s_delay_alu instid0(SALU_CYCLE_1)
	s_or_b32 exec_lo, exec_lo, s6
.LBB0_64:                               ;   in Loop: Header=BB0_38 Depth=1
	s_delay_alu instid0(SALU_CYCLE_1)
	s_or_b32 exec_lo, exec_lo, s5
	s_waitcnt lgkmcnt(0)
	s_clause 0x1
	global_load_b64 v[19:20], v34, s[2:3] offset:40
	global_load_b128 v[15:18], v34, s[2:3]
	v_readfirstlane_b32 s10, v12
	v_readfirstlane_b32 s11, v13
	s_mov_b32 s5, exec_lo
	s_waitcnt vmcnt(1)
	v_readfirstlane_b32 s6, v19
	v_readfirstlane_b32 s7, v20
	s_delay_alu instid0(VALU_DEP_1) | instskip(NEXT) | instid1(SALU_CYCLE_1)
	s_and_b64 s[6:7], s[10:11], s[6:7]
	s_mul_i32 s12, s7, 24
	s_mul_hi_u32 s13, s6, 24
	s_mul_i32 s14, s6, 24
	s_add_i32 s13, s13, s12
	s_waitcnt vmcnt(0)
	v_add_co_u32 v19, vcc_lo, v15, s14
	v_add_co_ci_u32_e32 v20, vcc_lo, s13, v16, vcc_lo
	s_and_saveexec_b32 s12, s1
	s_cbranch_execz .LBB0_66
; %bb.65:                               ;   in Loop: Header=BB0_38 Depth=1
	v_mov_b32_e32 v7, s5
	global_store_b128 v[19:20], v[7:10], off offset:8
.LBB0_66:                               ;   in Loop: Header=BB0_38 Depth=1
	s_or_b32 exec_lo, exec_lo, s12
	s_lshl_b64 s[6:7], s[6:7], 12
	s_mov_b32 s5, s4
	v_add_co_u32 v21, vcc_lo, v17, s6
	v_add_co_ci_u32_e32 v22, vcc_lo, s7, v18, vcc_lo
	s_mov_b32 s7, s4
	s_mov_b32 s6, s4
	v_dual_mov_b32 v12, v8 :: v_dual_lshlrev_b32 v49, 6, v37
	v_dual_mov_b32 v13, v8 :: v_dual_mov_b32 v26, s7
	v_dual_mov_b32 v14, v8 :: v_dual_mov_b32 v25, s6
	v_readfirstlane_b32 s12, v21
	v_readfirstlane_b32 s13, v22
	v_dual_mov_b32 v24, s5 :: v_dual_mov_b32 v23, s4
	s_clause 0x3
	global_store_b128 v49, v[11:14], s[12:13]
	global_store_b128 v49, v[23:26], s[12:13] offset:16
	global_store_b128 v49, v[23:26], s[12:13] offset:32
	;; [unrolled: 1-line block ×3, first 2 shown]
	s_and_saveexec_b32 s5, s1
	s_cbranch_execz .LBB0_74
; %bb.67:                               ;   in Loop: Header=BB0_38 Depth=1
	s_clause 0x1
	global_load_b64 v[25:26], v34, s[2:3] offset:32 glc
	global_load_b64 v[12:13], v34, s[2:3] offset:40
	s_mov_b32 s6, exec_lo
	v_dual_mov_b32 v23, s10 :: v_dual_mov_b32 v24, s11
	s_waitcnt vmcnt(0)
	v_and_b32_e32 v7, s11, v13
	v_and_b32_e32 v12, s10, v12
	s_delay_alu instid0(VALU_DEP_2) | instskip(NEXT) | instid1(VALU_DEP_2)
	v_mul_lo_u32 v7, v7, 24
	v_mul_hi_u32 v13, v12, 24
	v_mul_lo_u32 v12, v12, 24
	s_delay_alu instid0(VALU_DEP_2) | instskip(NEXT) | instid1(VALU_DEP_2)
	v_add_nc_u32_e32 v7, v13, v7
	v_add_co_u32 v17, vcc_lo, v15, v12
	s_delay_alu instid0(VALU_DEP_2)
	v_add_co_ci_u32_e32 v18, vcc_lo, v16, v7, vcc_lo
	global_store_b64 v[17:18], v[25:26], off
	s_waitcnt_vscnt null, 0x0
	global_atomic_cmpswap_b64 v[14:15], v34, v[23:26], s[2:3] offset:32 glc
	s_waitcnt vmcnt(0)
	v_cmpx_ne_u64_e64 v[14:15], v[25:26]
	s_cbranch_execz .LBB0_70
; %bb.68:                               ;   in Loop: Header=BB0_38 Depth=1
	s_mov_b32 s7, 0
.LBB0_69:                               ;   Parent Loop BB0_38 Depth=1
                                        ; =>  This Inner Loop Header: Depth=2
	v_dual_mov_b32 v12, s10 :: v_dual_mov_b32 v13, s11
	s_sleep 1
	global_store_b64 v[17:18], v[14:15], off
	s_waitcnt_vscnt null, 0x0
	global_atomic_cmpswap_b64 v[12:13], v34, v[12:15], s[2:3] offset:32 glc
	s_waitcnt vmcnt(0)
	v_cmp_eq_u64_e32 vcc_lo, v[12:13], v[14:15]
	v_dual_mov_b32 v15, v13 :: v_dual_mov_b32 v14, v12
	s_or_b32 s7, vcc_lo, s7
	s_delay_alu instid0(SALU_CYCLE_1)
	s_and_not1_b32 exec_lo, exec_lo, s7
	s_cbranch_execnz .LBB0_69
.LBB0_70:                               ;   in Loop: Header=BB0_38 Depth=1
	s_or_b32 exec_lo, exec_lo, s6
	global_load_b64 v[12:13], v34, s[2:3] offset:16
	s_mov_b32 s7, exec_lo
	s_mov_b32 s6, exec_lo
	v_mbcnt_lo_u32_b32 v7, s7, 0
	s_delay_alu instid0(VALU_DEP_1)
	v_cmpx_eq_u32_e32 0, v7
	s_cbranch_execz .LBB0_72
; %bb.71:                               ;   in Loop: Header=BB0_38 Depth=1
	s_bcnt1_i32_b32 s7, s7
	s_delay_alu instid0(SALU_CYCLE_1)
	v_mov_b32_e32 v7, s7
	s_waitcnt vmcnt(0)
	global_atomic_add_u64 v[12:13], v[7:8], off offset:8
.LBB0_72:                               ;   in Loop: Header=BB0_38 Depth=1
	s_or_b32 exec_lo, exec_lo, s6
	s_waitcnt vmcnt(0)
	global_load_b64 v[14:15], v[12:13], off offset:16
	s_waitcnt vmcnt(0)
	v_cmp_eq_u64_e32 vcc_lo, 0, v[14:15]
	s_cbranch_vccnz .LBB0_74
; %bb.73:                               ;   in Loop: Header=BB0_38 Depth=1
	global_load_b32 v33, v[12:13], off offset:24
	s_waitcnt vmcnt(0)
	v_and_b32_e32 v7, 0xffffff, v33
	s_waitcnt_vscnt null, 0x0
	global_store_b64 v[14:15], v[33:34], off
	v_readfirstlane_b32 m0, v7
	s_sendmsg sendmsg(MSG_INTERRUPT)
.LBB0_74:                               ;   in Loop: Header=BB0_38 Depth=1
	s_or_b32 exec_lo, exec_lo, s5
	v_add_co_u32 v12, vcc_lo, v21, v49
	v_add_co_ci_u32_e32 v13, vcc_lo, 0, v22, vcc_lo
	s_branch .LBB0_78
	.p2align	6
.LBB0_75:                               ;   in Loop: Header=BB0_78 Depth=2
	s_or_b32 exec_lo, exec_lo, s5
	s_delay_alu instid0(VALU_DEP_1) | instskip(NEXT) | instid1(VALU_DEP_1)
	v_readfirstlane_b32 s5, v7
	s_cmp_eq_u32 s5, 0
	s_cbranch_scc1 .LBB0_77
; %bb.76:                               ;   in Loop: Header=BB0_78 Depth=2
	s_sleep 1
	s_cbranch_execnz .LBB0_78
	s_branch .LBB0_80
	.p2align	6
.LBB0_77:                               ;   in Loop: Header=BB0_38 Depth=1
	s_branch .LBB0_80
.LBB0_78:                               ;   Parent Loop BB0_38 Depth=1
                                        ; =>  This Inner Loop Header: Depth=2
	v_mov_b32_e32 v7, 1
	s_and_saveexec_b32 s5, s1
	s_cbranch_execz .LBB0_75
; %bb.79:                               ;   in Loop: Header=BB0_78 Depth=2
	global_load_b32 v7, v[19:20], off offset:20 glc
	s_waitcnt vmcnt(0)
	buffer_gl1_inv
	buffer_gl0_inv
	v_and_b32_e32 v7, 1, v7
	s_branch .LBB0_75
.LBB0_80:                               ;   in Loop: Header=BB0_38 Depth=1
	global_load_b64 v[12:13], v[12:13], off
	s_and_saveexec_b32 s5, s1
	s_cbranch_execz .LBB0_84
; %bb.81:                               ;   in Loop: Header=BB0_38 Depth=1
	s_clause 0x2
	global_load_b64 v[16:17], v34, s[2:3] offset:40
	global_load_b64 v[20:21], v34, s[2:3] offset:24 glc
	global_load_b64 v[18:19], v34, s[2:3]
	s_waitcnt vmcnt(2)
	v_add_co_u32 v7, vcc_lo, v16, 1
	v_add_co_ci_u32_e32 v22, vcc_lo, 0, v17, vcc_lo
	s_delay_alu instid0(VALU_DEP_2) | instskip(NEXT) | instid1(VALU_DEP_2)
	v_add_co_u32 v14, vcc_lo, v7, s10
	v_add_co_ci_u32_e32 v15, vcc_lo, s11, v22, vcc_lo
	s_delay_alu instid0(VALU_DEP_1) | instskip(SKIP_1) | instid1(VALU_DEP_1)
	v_cmp_eq_u64_e32 vcc_lo, 0, v[14:15]
	v_dual_cndmask_b32 v15, v15, v22 :: v_dual_cndmask_b32 v14, v14, v7
	v_and_b32_e32 v7, v15, v17
	s_delay_alu instid0(VALU_DEP_2) | instskip(NEXT) | instid1(VALU_DEP_1)
	v_and_b32_e32 v16, v14, v16
	v_mul_hi_u32 v17, v16, 24
	v_mul_lo_u32 v16, v16, 24
	s_waitcnt vmcnt(0)
	s_delay_alu instid0(VALU_DEP_1) | instskip(SKIP_2) | instid1(VALU_DEP_1)
	v_add_co_u32 v18, vcc_lo, v18, v16
	v_mov_b32_e32 v16, v20
	v_mul_lo_u32 v7, v7, 24
	v_add_nc_u32_e32 v7, v17, v7
	v_mov_b32_e32 v17, v21
	s_delay_alu instid0(VALU_DEP_2)
	v_add_co_ci_u32_e32 v19, vcc_lo, v19, v7, vcc_lo
	global_store_b64 v[18:19], v[20:21], off
	s_waitcnt_vscnt null, 0x0
	global_atomic_cmpswap_b64 v[16:17], v34, v[14:17], s[2:3] offset:24 glc
	s_waitcnt vmcnt(0)
	v_cmp_ne_u64_e32 vcc_lo, v[16:17], v[20:21]
	s_and_b32 exec_lo, exec_lo, vcc_lo
	s_cbranch_execz .LBB0_84
; %bb.82:                               ;   in Loop: Header=BB0_38 Depth=1
	s_mov_b32 s1, 0
.LBB0_83:                               ;   Parent Loop BB0_38 Depth=1
                                        ; =>  This Inner Loop Header: Depth=2
	s_sleep 1
	global_store_b64 v[18:19], v[16:17], off
	s_waitcnt_vscnt null, 0x0
	global_atomic_cmpswap_b64 v[20:21], v34, v[14:17], s[2:3] offset:24 glc
	s_waitcnt vmcnt(0)
	v_cmp_eq_u64_e32 vcc_lo, v[20:21], v[16:17]
	v_dual_mov_b32 v16, v20 :: v_dual_mov_b32 v17, v21
	s_or_b32 s1, vcc_lo, s1
	s_delay_alu instid0(SALU_CYCLE_1)
	s_and_not1_b32 exec_lo, exec_lo, s1
	s_cbranch_execnz .LBB0_83
.LBB0_84:                               ;   in Loop: Header=BB0_38 Depth=1
	s_or_b32 exec_lo, exec_lo, s5
	s_delay_alu instid0(SALU_CYCLE_1)
	s_and_b32 vcc_lo, exec_lo, s20
	s_cbranch_vccz .LBB0_163
; %bb.85:                               ;   in Loop: Header=BB0_38 Depth=1
	s_waitcnt vmcnt(0)
	v_dual_mov_b32 v15, v13 :: v_dual_and_b32 v14, -3, v12
	s_mov_b64 s[10:11], 39
	s_getpc_b64 s[6:7]
	s_add_u32 s6, s6, .str.2@rel32@lo+4
	s_addc_u32 s7, s7, .str.2@rel32@hi+12
	s_branch .LBB0_87
.LBB0_86:                               ;   in Loop: Header=BB0_87 Depth=2
	s_or_b32 exec_lo, exec_lo, s5
	s_sub_u32 s10, s10, s12
	s_subb_u32 s11, s11, s13
	s_add_u32 s6, s6, s12
	s_addc_u32 s7, s7, s13
	s_cmp_lg_u64 s[10:11], 0
	s_cbranch_scc0 .LBB0_162
.LBB0_87:                               ;   Parent Loop BB0_38 Depth=1
                                        ; =>  This Loop Header: Depth=2
                                        ;       Child Loop BB0_90 Depth 3
                                        ;       Child Loop BB0_97 Depth 3
	;; [unrolled: 1-line block ×11, first 2 shown]
	v_cmp_lt_u64_e64 s1, s[10:11], 56
	v_cmp_gt_u64_e64 s5, s[10:11], 7
	s_delay_alu instid0(VALU_DEP_2) | instskip(SKIP_2) | instid1(VALU_DEP_1)
	s_and_b32 s1, s1, exec_lo
	s_cselect_b32 s13, s11, 0
	s_cselect_b32 s12, s10, 56
	s_and_b32 vcc_lo, exec_lo, s5
	s_cbranch_vccnz .LBB0_92
; %bb.88:                               ;   in Loop: Header=BB0_87 Depth=2
	s_waitcnt vmcnt(0)
	v_mov_b32_e32 v16, 0
	v_mov_b32_e32 v17, 0
	s_cmp_eq_u64 s[10:11], 0
	s_mov_b64 s[14:15], 0
	s_cbranch_scc1 .LBB0_91
; %bb.89:                               ;   in Loop: Header=BB0_87 Depth=2
	v_mov_b32_e32 v16, 0
	v_mov_b32_e32 v17, 0
	s_lshl_b64 s[16:17], s[12:13], 3
	s_mov_b64 s[18:19], s[6:7]
.LBB0_90:                               ;   Parent Loop BB0_38 Depth=1
                                        ;     Parent Loop BB0_87 Depth=2
                                        ; =>    This Inner Loop Header: Depth=3
	global_load_u8 v7, v34, s[18:19]
	s_waitcnt vmcnt(0)
	v_and_b32_e32 v33, 0xffff, v7
	s_delay_alu instid0(VALU_DEP_1)
	v_lshlrev_b64 v[18:19], s14, v[33:34]
	s_add_u32 s14, s14, 8
	s_addc_u32 s15, s15, 0
	s_add_u32 s18, s18, 1
	s_addc_u32 s19, s19, 0
	s_cmp_lg_u32 s16, s14
	v_or_b32_e32 v16, v18, v16
	v_or_b32_e32 v17, v19, v17
	s_cbranch_scc1 .LBB0_90
.LBB0_91:                               ;   in Loop: Header=BB0_87 Depth=2
	s_mov_b32 s1, 0
	s_mov_b64 s[14:15], s[6:7]
	s_cbranch_execz .LBB0_93
	s_branch .LBB0_94
.LBB0_92:                               ;   in Loop: Header=BB0_87 Depth=2
                                        ; implicit-def: $sgpr1
	s_mov_b64 s[14:15], s[6:7]
.LBB0_93:                               ;   in Loop: Header=BB0_87 Depth=2
	global_load_b64 v[16:17], v34, s[6:7]
	s_add_i32 s1, s12, -8
	s_add_u32 s14, s6, 8
	s_addc_u32 s15, s7, 0
.LBB0_94:                               ;   in Loop: Header=BB0_87 Depth=2
	s_cmp_gt_u32 s1, 7
	s_cbranch_scc1 .LBB0_99
; %bb.95:                               ;   in Loop: Header=BB0_87 Depth=2
	v_mov_b32_e32 v18, 0
	v_mov_b32_e32 v19, 0
	s_cmp_eq_u32 s1, 0
	s_cbranch_scc1 .LBB0_98
; %bb.96:                               ;   in Loop: Header=BB0_87 Depth=2
	s_mov_b64 s[16:17], 0
	s_mov_b64 s[18:19], 0
.LBB0_97:                               ;   Parent Loop BB0_38 Depth=1
                                        ;     Parent Loop BB0_87 Depth=2
                                        ; =>    This Inner Loop Header: Depth=3
	s_delay_alu instid0(SALU_CYCLE_1)
	s_add_u32 s24, s14, s18
	s_addc_u32 s25, s15, s19
	s_add_u32 s18, s18, 1
	global_load_u8 v7, v34, s[24:25]
	s_addc_u32 s19, s19, 0
	s_waitcnt vmcnt(0)
	v_and_b32_e32 v33, 0xffff, v7
	s_delay_alu instid0(VALU_DEP_1) | instskip(SKIP_3) | instid1(VALU_DEP_1)
	v_lshlrev_b64 v[20:21], s16, v[33:34]
	s_add_u32 s16, s16, 8
	s_addc_u32 s17, s17, 0
	s_cmp_lg_u32 s1, s18
	v_or_b32_e32 v18, v20, v18
	s_delay_alu instid0(VALU_DEP_2)
	v_or_b32_e32 v19, v21, v19
	s_cbranch_scc1 .LBB0_97
.LBB0_98:                               ;   in Loop: Header=BB0_87 Depth=2
	s_mov_b32 s5, 0
	s_cbranch_execz .LBB0_100
	s_branch .LBB0_101
.LBB0_99:                               ;   in Loop: Header=BB0_87 Depth=2
                                        ; implicit-def: $vgpr18_vgpr19
                                        ; implicit-def: $sgpr5
.LBB0_100:                              ;   in Loop: Header=BB0_87 Depth=2
	global_load_b64 v[18:19], v34, s[14:15]
	s_add_i32 s5, s1, -8
	s_add_u32 s14, s14, 8
	s_addc_u32 s15, s15, 0
.LBB0_101:                              ;   in Loop: Header=BB0_87 Depth=2
	s_cmp_gt_u32 s5, 7
	s_cbranch_scc1 .LBB0_106
; %bb.102:                              ;   in Loop: Header=BB0_87 Depth=2
	v_mov_b32_e32 v20, 0
	v_mov_b32_e32 v21, 0
	s_cmp_eq_u32 s5, 0
	s_cbranch_scc1 .LBB0_105
; %bb.103:                              ;   in Loop: Header=BB0_87 Depth=2
	s_mov_b64 s[16:17], 0
	s_mov_b64 s[18:19], 0
.LBB0_104:                              ;   Parent Loop BB0_38 Depth=1
                                        ;     Parent Loop BB0_87 Depth=2
                                        ; =>    This Inner Loop Header: Depth=3
	s_delay_alu instid0(SALU_CYCLE_1)
	s_add_u32 s24, s14, s18
	s_addc_u32 s25, s15, s19
	s_add_u32 s18, s18, 1
	global_load_u8 v7, v34, s[24:25]
	s_addc_u32 s19, s19, 0
	s_waitcnt vmcnt(0)
	v_and_b32_e32 v33, 0xffff, v7
	s_delay_alu instid0(VALU_DEP_1) | instskip(SKIP_3) | instid1(VALU_DEP_1)
	v_lshlrev_b64 v[22:23], s16, v[33:34]
	s_add_u32 s16, s16, 8
	s_addc_u32 s17, s17, 0
	s_cmp_lg_u32 s5, s18
	v_or_b32_e32 v20, v22, v20
	s_delay_alu instid0(VALU_DEP_2)
	v_or_b32_e32 v21, v23, v21
	s_cbranch_scc1 .LBB0_104
.LBB0_105:                              ;   in Loop: Header=BB0_87 Depth=2
	s_mov_b32 s1, 0
	s_cbranch_execz .LBB0_107
	s_branch .LBB0_108
.LBB0_106:                              ;   in Loop: Header=BB0_87 Depth=2
                                        ; implicit-def: $sgpr1
.LBB0_107:                              ;   in Loop: Header=BB0_87 Depth=2
	global_load_b64 v[20:21], v34, s[14:15]
	s_add_i32 s1, s5, -8
	s_add_u32 s14, s14, 8
	s_addc_u32 s15, s15, 0
.LBB0_108:                              ;   in Loop: Header=BB0_87 Depth=2
	s_cmp_gt_u32 s1, 7
	s_cbranch_scc1 .LBB0_113
; %bb.109:                              ;   in Loop: Header=BB0_87 Depth=2
	v_mov_b32_e32 v22, 0
	v_mov_b32_e32 v23, 0
	s_cmp_eq_u32 s1, 0
	s_cbranch_scc1 .LBB0_112
; %bb.110:                              ;   in Loop: Header=BB0_87 Depth=2
	s_mov_b64 s[16:17], 0
	s_mov_b64 s[18:19], 0
.LBB0_111:                              ;   Parent Loop BB0_38 Depth=1
                                        ;     Parent Loop BB0_87 Depth=2
                                        ; =>    This Inner Loop Header: Depth=3
	s_delay_alu instid0(SALU_CYCLE_1)
	s_add_u32 s24, s14, s18
	s_addc_u32 s25, s15, s19
	s_add_u32 s18, s18, 1
	global_load_u8 v7, v34, s[24:25]
	s_addc_u32 s19, s19, 0
	s_waitcnt vmcnt(0)
	v_and_b32_e32 v33, 0xffff, v7
	s_delay_alu instid0(VALU_DEP_1) | instskip(SKIP_3) | instid1(VALU_DEP_1)
	v_lshlrev_b64 v[24:25], s16, v[33:34]
	s_add_u32 s16, s16, 8
	s_addc_u32 s17, s17, 0
	s_cmp_lg_u32 s1, s18
	v_or_b32_e32 v22, v24, v22
	s_delay_alu instid0(VALU_DEP_2)
	v_or_b32_e32 v23, v25, v23
	s_cbranch_scc1 .LBB0_111
.LBB0_112:                              ;   in Loop: Header=BB0_87 Depth=2
	s_mov_b32 s5, 0
	s_cbranch_execz .LBB0_114
	s_branch .LBB0_115
.LBB0_113:                              ;   in Loop: Header=BB0_87 Depth=2
                                        ; implicit-def: $vgpr22_vgpr23
                                        ; implicit-def: $sgpr5
.LBB0_114:                              ;   in Loop: Header=BB0_87 Depth=2
	global_load_b64 v[22:23], v34, s[14:15]
	s_add_i32 s5, s1, -8
	s_add_u32 s14, s14, 8
	s_addc_u32 s15, s15, 0
.LBB0_115:                              ;   in Loop: Header=BB0_87 Depth=2
	s_cmp_gt_u32 s5, 7
	s_cbranch_scc1 .LBB0_120
; %bb.116:                              ;   in Loop: Header=BB0_87 Depth=2
	v_mov_b32_e32 v24, 0
	v_mov_b32_e32 v25, 0
	s_cmp_eq_u32 s5, 0
	s_cbranch_scc1 .LBB0_119
; %bb.117:                              ;   in Loop: Header=BB0_87 Depth=2
	s_mov_b64 s[16:17], 0
	s_mov_b64 s[18:19], 0
.LBB0_118:                              ;   Parent Loop BB0_38 Depth=1
                                        ;     Parent Loop BB0_87 Depth=2
                                        ; =>    This Inner Loop Header: Depth=3
	s_delay_alu instid0(SALU_CYCLE_1)
	s_add_u32 s24, s14, s18
	s_addc_u32 s25, s15, s19
	s_add_u32 s18, s18, 1
	global_load_u8 v7, v34, s[24:25]
	s_addc_u32 s19, s19, 0
	s_waitcnt vmcnt(0)
	v_and_b32_e32 v33, 0xffff, v7
	s_delay_alu instid0(VALU_DEP_1) | instskip(SKIP_3) | instid1(VALU_DEP_1)
	v_lshlrev_b64 v[26:27], s16, v[33:34]
	s_add_u32 s16, s16, 8
	s_addc_u32 s17, s17, 0
	s_cmp_lg_u32 s5, s18
	v_or_b32_e32 v24, v26, v24
	s_delay_alu instid0(VALU_DEP_2)
	v_or_b32_e32 v25, v27, v25
	s_cbranch_scc1 .LBB0_118
.LBB0_119:                              ;   in Loop: Header=BB0_87 Depth=2
	s_mov_b32 s1, 0
	s_cbranch_execz .LBB0_121
	s_branch .LBB0_122
.LBB0_120:                              ;   in Loop: Header=BB0_87 Depth=2
                                        ; implicit-def: $sgpr1
.LBB0_121:                              ;   in Loop: Header=BB0_87 Depth=2
	global_load_b64 v[24:25], v34, s[14:15]
	s_add_i32 s1, s5, -8
	s_add_u32 s14, s14, 8
	s_addc_u32 s15, s15, 0
.LBB0_122:                              ;   in Loop: Header=BB0_87 Depth=2
	s_cmp_gt_u32 s1, 7
	s_cbranch_scc1 .LBB0_127
; %bb.123:                              ;   in Loop: Header=BB0_87 Depth=2
	v_mov_b32_e32 v26, 0
	v_mov_b32_e32 v27, 0
	s_cmp_eq_u32 s1, 0
	s_cbranch_scc1 .LBB0_126
; %bb.124:                              ;   in Loop: Header=BB0_87 Depth=2
	s_mov_b64 s[16:17], 0
	s_mov_b64 s[18:19], 0
.LBB0_125:                              ;   Parent Loop BB0_38 Depth=1
                                        ;     Parent Loop BB0_87 Depth=2
                                        ; =>    This Inner Loop Header: Depth=3
	s_delay_alu instid0(SALU_CYCLE_1)
	s_add_u32 s24, s14, s18
	s_addc_u32 s25, s15, s19
	s_add_u32 s18, s18, 1
	global_load_u8 v7, v34, s[24:25]
	s_addc_u32 s19, s19, 0
	s_waitcnt vmcnt(0)
	v_and_b32_e32 v33, 0xffff, v7
	s_delay_alu instid0(VALU_DEP_1) | instskip(SKIP_3) | instid1(VALU_DEP_1)
	v_lshlrev_b64 v[28:29], s16, v[33:34]
	s_add_u32 s16, s16, 8
	s_addc_u32 s17, s17, 0
	s_cmp_lg_u32 s1, s18
	v_or_b32_e32 v26, v28, v26
	s_delay_alu instid0(VALU_DEP_2)
	v_or_b32_e32 v27, v29, v27
	s_cbranch_scc1 .LBB0_125
.LBB0_126:                              ;   in Loop: Header=BB0_87 Depth=2
	s_mov_b32 s5, 0
	s_cbranch_execz .LBB0_128
	s_branch .LBB0_129
.LBB0_127:                              ;   in Loop: Header=BB0_87 Depth=2
                                        ; implicit-def: $vgpr26_vgpr27
                                        ; implicit-def: $sgpr5
.LBB0_128:                              ;   in Loop: Header=BB0_87 Depth=2
	global_load_b64 v[26:27], v34, s[14:15]
	s_add_i32 s5, s1, -8
	s_add_u32 s14, s14, 8
	s_addc_u32 s15, s15, 0
.LBB0_129:                              ;   in Loop: Header=BB0_87 Depth=2
	s_cmp_gt_u32 s5, 7
	s_cbranch_scc1 .LBB0_134
; %bb.130:                              ;   in Loop: Header=BB0_87 Depth=2
	v_mov_b32_e32 v28, 0
	v_mov_b32_e32 v29, 0
	s_cmp_eq_u32 s5, 0
	s_cbranch_scc1 .LBB0_133
; %bb.131:                              ;   in Loop: Header=BB0_87 Depth=2
	s_mov_b64 s[16:17], 0
	s_mov_b64 s[18:19], s[14:15]
.LBB0_132:                              ;   Parent Loop BB0_38 Depth=1
                                        ;     Parent Loop BB0_87 Depth=2
                                        ; =>    This Inner Loop Header: Depth=3
	global_load_u8 v7, v34, s[18:19]
	s_add_i32 s5, s5, -1
	s_waitcnt vmcnt(0)
	v_and_b32_e32 v33, 0xffff, v7
	s_delay_alu instid0(VALU_DEP_1)
	v_lshlrev_b64 v[30:31], s16, v[33:34]
	s_add_u32 s16, s16, 8
	s_addc_u32 s17, s17, 0
	s_add_u32 s18, s18, 1
	s_addc_u32 s19, s19, 0
	s_cmp_lg_u32 s5, 0
	v_or_b32_e32 v28, v30, v28
	v_or_b32_e32 v29, v31, v29
	s_cbranch_scc1 .LBB0_132
.LBB0_133:                              ;   in Loop: Header=BB0_87 Depth=2
	s_cbranch_execz .LBB0_135
	s_branch .LBB0_136
.LBB0_134:                              ;   in Loop: Header=BB0_87 Depth=2
.LBB0_135:                              ;   in Loop: Header=BB0_87 Depth=2
	global_load_b64 v[28:29], v34, s[14:15]
.LBB0_136:                              ;   in Loop: Header=BB0_87 Depth=2
	v_readfirstlane_b32 s1, v37
	v_mov_b32_e32 v35, 0
	v_mov_b32_e32 v36, 0
	s_delay_alu instid0(VALU_DEP_3) | instskip(NEXT) | instid1(VALU_DEP_1)
	v_cmp_eq_u32_e64 s1, s1, v37
	s_and_saveexec_b32 s5, s1
	s_cbranch_execz .LBB0_142
; %bb.137:                              ;   in Loop: Header=BB0_87 Depth=2
	global_load_b64 v[32:33], v34, s[2:3] offset:24 glc
	s_waitcnt vmcnt(0)
	buffer_gl1_inv
	buffer_gl0_inv
	s_clause 0x1
	global_load_b64 v[30:31], v34, s[2:3] offset:40
	global_load_b64 v[35:36], v34, s[2:3]
	s_mov_b32 s14, exec_lo
	s_waitcnt vmcnt(1)
	v_and_b32_e32 v7, v31, v33
	v_and_b32_e32 v30, v30, v32
	s_delay_alu instid0(VALU_DEP_2) | instskip(NEXT) | instid1(VALU_DEP_2)
	v_mul_lo_u32 v7, v7, 24
	v_mul_hi_u32 v31, v30, 24
	v_mul_lo_u32 v30, v30, 24
	s_delay_alu instid0(VALU_DEP_2) | instskip(SKIP_1) | instid1(VALU_DEP_2)
	v_add_nc_u32_e32 v7, v31, v7
	s_waitcnt vmcnt(0)
	v_add_co_u32 v30, vcc_lo, v35, v30
	s_delay_alu instid0(VALU_DEP_2)
	v_add_co_ci_u32_e32 v31, vcc_lo, v36, v7, vcc_lo
	global_load_b64 v[30:31], v[30:31], off glc
	s_waitcnt vmcnt(0)
	global_atomic_cmpswap_b64 v[35:36], v34, v[30:33], s[2:3] offset:24 glc
	s_waitcnt vmcnt(0)
	buffer_gl1_inv
	buffer_gl0_inv
	v_cmpx_ne_u64_e64 v[35:36], v[32:33]
	s_cbranch_execz .LBB0_141
; %bb.138:                              ;   in Loop: Header=BB0_87 Depth=2
	s_mov_b32 s15, 0
	.p2align	6
.LBB0_139:                              ;   Parent Loop BB0_38 Depth=1
                                        ;     Parent Loop BB0_87 Depth=2
                                        ; =>    This Inner Loop Header: Depth=3
	s_sleep 1
	s_clause 0x1
	global_load_b64 v[30:31], v34, s[2:3] offset:40
	global_load_b64 v[50:51], v34, s[2:3]
	v_dual_mov_b32 v32, v35 :: v_dual_mov_b32 v33, v36
	s_waitcnt vmcnt(1)
	s_delay_alu instid0(VALU_DEP_1) | instskip(SKIP_1) | instid1(VALU_DEP_1)
	v_and_b32_e32 v7, v30, v32
	s_waitcnt vmcnt(0)
	v_mad_u64_u32 v[35:36], null, v7, 24, v[50:51]
	s_delay_alu instid0(VALU_DEP_1) | instskip(NEXT) | instid1(VALU_DEP_1)
	v_dual_mov_b32 v7, v36 :: v_dual_and_b32 v50, v31, v33
	v_mad_u64_u32 v[30:31], null, v50, 24, v[7:8]
	s_delay_alu instid0(VALU_DEP_1)
	v_mov_b32_e32 v36, v30
	global_load_b64 v[30:31], v[35:36], off glc
	s_waitcnt vmcnt(0)
	global_atomic_cmpswap_b64 v[35:36], v34, v[30:33], s[2:3] offset:24 glc
	s_waitcnt vmcnt(0)
	buffer_gl1_inv
	buffer_gl0_inv
	v_cmp_eq_u64_e32 vcc_lo, v[35:36], v[32:33]
	s_or_b32 s15, vcc_lo, s15
	s_delay_alu instid0(SALU_CYCLE_1)
	s_and_not1_b32 exec_lo, exec_lo, s15
	s_cbranch_execnz .LBB0_139
; %bb.140:                              ;   in Loop: Header=BB0_87 Depth=2
	s_or_b32 exec_lo, exec_lo, s15
.LBB0_141:                              ;   in Loop: Header=BB0_87 Depth=2
	s_delay_alu instid0(SALU_CYCLE_1)
	s_or_b32 exec_lo, exec_lo, s14
.LBB0_142:                              ;   in Loop: Header=BB0_87 Depth=2
	s_delay_alu instid0(SALU_CYCLE_1)
	s_or_b32 exec_lo, exec_lo, s5
	s_clause 0x1
	global_load_b64 v[50:51], v34, s[2:3] offset:40
	global_load_b128 v[30:33], v34, s[2:3]
	v_readfirstlane_b32 s14, v35
	v_readfirstlane_b32 s15, v36
	s_mov_b32 s5, exec_lo
	s_waitcnt vmcnt(1)
	v_readfirstlane_b32 s16, v50
	v_readfirstlane_b32 s17, v51
	s_delay_alu instid0(VALU_DEP_1) | instskip(NEXT) | instid1(SALU_CYCLE_1)
	s_and_b64 s[16:17], s[14:15], s[16:17]
	s_mul_i32 s18, s17, 24
	s_mul_hi_u32 s19, s16, 24
	s_mul_i32 s23, s16, 24
	s_add_i32 s19, s19, s18
	s_waitcnt vmcnt(0)
	v_add_co_u32 v35, vcc_lo, v30, s23
	v_add_co_ci_u32_e32 v36, vcc_lo, s19, v31, vcc_lo
	s_and_saveexec_b32 s18, s1
	s_cbranch_execz .LBB0_144
; %bb.143:                              ;   in Loop: Header=BB0_87 Depth=2
	v_mov_b32_e32 v7, s5
	global_store_b128 v[35:36], v[7:10], off offset:8
.LBB0_144:                              ;   in Loop: Header=BB0_87 Depth=2
	s_or_b32 exec_lo, exec_lo, s18
	s_lshl_b64 s[16:17], s[16:17], 12
	v_or_b32_e32 v7, 2, v14
	v_add_co_u32 v32, vcc_lo, v32, s16
	v_add_co_ci_u32_e32 v50, vcc_lo, s17, v33, vcc_lo
	v_cmp_gt_u64_e64 vcc_lo, s[10:11], 56
	s_lshl_b32 s5, s12, 2
	s_delay_alu instid0(VALU_DEP_3) | instskip(SKIP_4) | instid1(VALU_DEP_1)
	v_readfirstlane_b32 s16, v32
	s_add_i32 s5, s5, 28
	v_readfirstlane_b32 s17, v50
	s_and_b32 s5, s5, 0x1e0
	v_cndmask_b32_e32 v7, v7, v14, vcc_lo
	v_and_or_b32 v14, 0xffffff1f, v7, s5
	s_clause 0x3
	global_store_b128 v49, v[14:17], s[16:17]
	global_store_b128 v49, v[18:21], s[16:17] offset:16
	global_store_b128 v49, v[22:25], s[16:17] offset:32
	;; [unrolled: 1-line block ×3, first 2 shown]
	s_and_saveexec_b32 s5, s1
	s_cbranch_execz .LBB0_152
; %bb.145:                              ;   in Loop: Header=BB0_87 Depth=2
	s_clause 0x1
	global_load_b64 v[22:23], v34, s[2:3] offset:32 glc
	global_load_b64 v[14:15], v34, s[2:3] offset:40
	v_dual_mov_b32 v20, s14 :: v_dual_mov_b32 v21, s15
	s_waitcnt vmcnt(0)
	v_readfirstlane_b32 s16, v14
	v_readfirstlane_b32 s17, v15
	s_delay_alu instid0(VALU_DEP_1) | instskip(NEXT) | instid1(SALU_CYCLE_1)
	s_and_b64 s[16:17], s[16:17], s[14:15]
	s_mul_i32 s17, s17, 24
	s_mul_hi_u32 s18, s16, 24
	s_mul_i32 s16, s16, 24
	s_add_i32 s18, s18, s17
	v_add_co_u32 v18, vcc_lo, v30, s16
	v_add_co_ci_u32_e32 v19, vcc_lo, s18, v31, vcc_lo
	s_mov_b32 s16, exec_lo
	global_store_b64 v[18:19], v[22:23], off
	s_waitcnt_vscnt null, 0x0
	global_atomic_cmpswap_b64 v[16:17], v34, v[20:23], s[2:3] offset:32 glc
	s_waitcnt vmcnt(0)
	v_cmpx_ne_u64_e64 v[16:17], v[22:23]
	s_cbranch_execz .LBB0_148
; %bb.146:                              ;   in Loop: Header=BB0_87 Depth=2
	s_mov_b32 s17, 0
.LBB0_147:                              ;   Parent Loop BB0_38 Depth=1
                                        ;     Parent Loop BB0_87 Depth=2
                                        ; =>    This Inner Loop Header: Depth=3
	v_dual_mov_b32 v14, s14 :: v_dual_mov_b32 v15, s15
	s_sleep 1
	global_store_b64 v[18:19], v[16:17], off
	s_waitcnt_vscnt null, 0x0
	global_atomic_cmpswap_b64 v[14:15], v34, v[14:17], s[2:3] offset:32 glc
	s_waitcnt vmcnt(0)
	v_cmp_eq_u64_e32 vcc_lo, v[14:15], v[16:17]
	v_dual_mov_b32 v17, v15 :: v_dual_mov_b32 v16, v14
	s_or_b32 s17, vcc_lo, s17
	s_delay_alu instid0(SALU_CYCLE_1)
	s_and_not1_b32 exec_lo, exec_lo, s17
	s_cbranch_execnz .LBB0_147
.LBB0_148:                              ;   in Loop: Header=BB0_87 Depth=2
	s_or_b32 exec_lo, exec_lo, s16
	global_load_b64 v[14:15], v34, s[2:3] offset:16
	s_mov_b32 s17, exec_lo
	s_mov_b32 s16, exec_lo
	v_mbcnt_lo_u32_b32 v7, s17, 0
	s_delay_alu instid0(VALU_DEP_1)
	v_cmpx_eq_u32_e32 0, v7
	s_cbranch_execz .LBB0_150
; %bb.149:                              ;   in Loop: Header=BB0_87 Depth=2
	s_bcnt1_i32_b32 s17, s17
	s_delay_alu instid0(SALU_CYCLE_1)
	v_mov_b32_e32 v7, s17
	s_waitcnt vmcnt(0)
	global_atomic_add_u64 v[14:15], v[7:8], off offset:8
.LBB0_150:                              ;   in Loop: Header=BB0_87 Depth=2
	s_or_b32 exec_lo, exec_lo, s16
	s_waitcnt vmcnt(0)
	global_load_b64 v[16:17], v[14:15], off offset:16
	s_waitcnt vmcnt(0)
	v_cmp_eq_u64_e32 vcc_lo, 0, v[16:17]
	s_cbranch_vccnz .LBB0_152
; %bb.151:                              ;   in Loop: Header=BB0_87 Depth=2
	global_load_b32 v33, v[14:15], off offset:24
	s_waitcnt vmcnt(0)
	v_and_b32_e32 v7, 0xffffff, v33
	s_waitcnt_vscnt null, 0x0
	global_store_b64 v[16:17], v[33:34], off
	v_readfirstlane_b32 m0, v7
	s_sendmsg sendmsg(MSG_INTERRUPT)
.LBB0_152:                              ;   in Loop: Header=BB0_87 Depth=2
	s_or_b32 exec_lo, exec_lo, s5
	v_add_co_u32 v14, vcc_lo, v32, v49
	v_add_co_ci_u32_e32 v15, vcc_lo, 0, v50, vcc_lo
	s_branch .LBB0_156
	.p2align	6
.LBB0_153:                              ;   in Loop: Header=BB0_156 Depth=3
	s_or_b32 exec_lo, exec_lo, s5
	s_delay_alu instid0(VALU_DEP_1) | instskip(NEXT) | instid1(VALU_DEP_1)
	v_readfirstlane_b32 s5, v7
	s_cmp_eq_u32 s5, 0
	s_cbranch_scc1 .LBB0_155
; %bb.154:                              ;   in Loop: Header=BB0_156 Depth=3
	s_sleep 1
	s_cbranch_execnz .LBB0_156
	s_branch .LBB0_158
	.p2align	6
.LBB0_155:                              ;   in Loop: Header=BB0_87 Depth=2
	s_branch .LBB0_158
.LBB0_156:                              ;   Parent Loop BB0_38 Depth=1
                                        ;     Parent Loop BB0_87 Depth=2
                                        ; =>    This Inner Loop Header: Depth=3
	v_mov_b32_e32 v7, 1
	s_and_saveexec_b32 s5, s1
	s_cbranch_execz .LBB0_153
; %bb.157:                              ;   in Loop: Header=BB0_156 Depth=3
	global_load_b32 v7, v[35:36], off offset:20 glc
	s_waitcnt vmcnt(0)
	buffer_gl1_inv
	buffer_gl0_inv
	v_and_b32_e32 v7, 1, v7
	s_branch .LBB0_153
.LBB0_158:                              ;   in Loop: Header=BB0_87 Depth=2
	global_load_b128 v[14:17], v[14:15], off
	s_and_saveexec_b32 s5, s1
	s_cbranch_execz .LBB0_86
; %bb.159:                              ;   in Loop: Header=BB0_87 Depth=2
	s_clause 0x2
	global_load_b64 v[18:19], v34, s[2:3] offset:40
	global_load_b64 v[22:23], v34, s[2:3] offset:24 glc
	global_load_b64 v[20:21], v34, s[2:3]
	s_waitcnt vmcnt(2)
	v_add_co_u32 v7, vcc_lo, v18, 1
	v_add_co_ci_u32_e32 v24, vcc_lo, 0, v19, vcc_lo
	s_delay_alu instid0(VALU_DEP_2) | instskip(NEXT) | instid1(VALU_DEP_2)
	v_add_co_u32 v16, vcc_lo, v7, s14
	v_add_co_ci_u32_e32 v17, vcc_lo, s15, v24, vcc_lo
	s_delay_alu instid0(VALU_DEP_1) | instskip(SKIP_1) | instid1(VALU_DEP_1)
	v_cmp_eq_u64_e32 vcc_lo, 0, v[16:17]
	v_dual_cndmask_b32 v17, v17, v24 :: v_dual_cndmask_b32 v16, v16, v7
	v_and_b32_e32 v7, v17, v19
	s_delay_alu instid0(VALU_DEP_2) | instskip(NEXT) | instid1(VALU_DEP_1)
	v_and_b32_e32 v18, v16, v18
	v_mul_hi_u32 v19, v18, 24
	v_mul_lo_u32 v18, v18, 24
	s_waitcnt vmcnt(0)
	s_delay_alu instid0(VALU_DEP_1) | instskip(SKIP_2) | instid1(VALU_DEP_1)
	v_add_co_u32 v20, vcc_lo, v20, v18
	v_mov_b32_e32 v18, v22
	v_mul_lo_u32 v7, v7, 24
	v_add_nc_u32_e32 v7, v19, v7
	v_mov_b32_e32 v19, v23
	s_delay_alu instid0(VALU_DEP_2)
	v_add_co_ci_u32_e32 v21, vcc_lo, v21, v7, vcc_lo
	global_store_b64 v[20:21], v[22:23], off
	s_waitcnt_vscnt null, 0x0
	global_atomic_cmpswap_b64 v[18:19], v34, v[16:19], s[2:3] offset:24 glc
	s_waitcnt vmcnt(0)
	v_cmp_ne_u64_e32 vcc_lo, v[18:19], v[22:23]
	s_and_b32 exec_lo, exec_lo, vcc_lo
	s_cbranch_execz .LBB0_86
; %bb.160:                              ;   in Loop: Header=BB0_87 Depth=2
	s_mov_b32 s1, 0
.LBB0_161:                              ;   Parent Loop BB0_38 Depth=1
                                        ;     Parent Loop BB0_87 Depth=2
                                        ; =>    This Inner Loop Header: Depth=3
	s_sleep 1
	global_store_b64 v[20:21], v[18:19], off
	s_waitcnt_vscnt null, 0x0
	global_atomic_cmpswap_b64 v[22:23], v34, v[16:19], s[2:3] offset:24 glc
	s_waitcnt vmcnt(0)
	v_cmp_eq_u64_e32 vcc_lo, v[22:23], v[18:19]
	v_dual_mov_b32 v18, v22 :: v_dual_mov_b32 v19, v23
	s_or_b32 s1, vcc_lo, s1
	s_delay_alu instid0(SALU_CYCLE_1)
	s_and_not1_b32 exec_lo, exec_lo, s1
	s_cbranch_execnz .LBB0_161
	s_branch .LBB0_86
.LBB0_162:                              ;   in Loop: Header=BB0_38 Depth=1
	s_branch .LBB0_191
.LBB0_163:                              ;   in Loop: Header=BB0_38 Depth=1
	s_cbranch_execz .LBB0_191
; %bb.164:                              ;   in Loop: Header=BB0_38 Depth=1
	v_readfirstlane_b32 s1, v37
	s_waitcnt vmcnt(0)
	v_mov_b32_e32 v14, 0
	v_mov_b32_e32 v15, 0
	s_delay_alu instid0(VALU_DEP_3) | instskip(NEXT) | instid1(VALU_DEP_1)
	v_cmp_eq_u32_e64 s1, s1, v37
	s_and_saveexec_b32 s5, s1
	s_cbranch_execz .LBB0_170
; %bb.165:                              ;   in Loop: Header=BB0_38 Depth=1
	global_load_b64 v[16:17], v34, s[2:3] offset:24 glc
	s_waitcnt vmcnt(0)
	buffer_gl1_inv
	buffer_gl0_inv
	s_clause 0x1
	global_load_b64 v[14:15], v34, s[2:3] offset:40
	global_load_b64 v[18:19], v34, s[2:3]
	s_mov_b32 s6, exec_lo
	s_waitcnt vmcnt(1)
	v_and_b32_e32 v7, v15, v17
	v_and_b32_e32 v14, v14, v16
	s_delay_alu instid0(VALU_DEP_2) | instskip(NEXT) | instid1(VALU_DEP_2)
	v_mul_lo_u32 v7, v7, 24
	v_mul_hi_u32 v15, v14, 24
	v_mul_lo_u32 v14, v14, 24
	s_delay_alu instid0(VALU_DEP_2) | instskip(SKIP_1) | instid1(VALU_DEP_2)
	v_add_nc_u32_e32 v7, v15, v7
	s_waitcnt vmcnt(0)
	v_add_co_u32 v14, vcc_lo, v18, v14
	s_delay_alu instid0(VALU_DEP_2)
	v_add_co_ci_u32_e32 v15, vcc_lo, v19, v7, vcc_lo
	global_load_b64 v[14:15], v[14:15], off glc
	s_waitcnt vmcnt(0)
	global_atomic_cmpswap_b64 v[14:15], v34, v[14:17], s[2:3] offset:24 glc
	s_waitcnt vmcnt(0)
	buffer_gl1_inv
	buffer_gl0_inv
	v_cmpx_ne_u64_e64 v[14:15], v[16:17]
	s_cbranch_execz .LBB0_169
; %bb.166:                              ;   in Loop: Header=BB0_38 Depth=1
	s_mov_b32 s7, 0
	.p2align	6
.LBB0_167:                              ;   Parent Loop BB0_38 Depth=1
                                        ; =>  This Inner Loop Header: Depth=2
	s_sleep 1
	s_clause 0x1
	global_load_b64 v[18:19], v34, s[2:3] offset:40
	global_load_b64 v[20:21], v34, s[2:3]
	v_dual_mov_b32 v17, v15 :: v_dual_mov_b32 v16, v14
	s_waitcnt vmcnt(1)
	s_delay_alu instid0(VALU_DEP_1) | instskip(SKIP_1) | instid1(VALU_DEP_1)
	v_and_b32_e32 v7, v18, v16
	s_waitcnt vmcnt(0)
	v_mad_u64_u32 v[14:15], null, v7, 24, v[20:21]
	v_and_b32_e32 v20, v19, v17
	s_delay_alu instid0(VALU_DEP_2) | instskip(NEXT) | instid1(VALU_DEP_1)
	v_mov_b32_e32 v7, v15
	v_mad_u64_u32 v[18:19], null, v20, 24, v[7:8]
	s_delay_alu instid0(VALU_DEP_1)
	v_mov_b32_e32 v15, v18
	global_load_b64 v[14:15], v[14:15], off glc
	s_waitcnt vmcnt(0)
	global_atomic_cmpswap_b64 v[14:15], v34, v[14:17], s[2:3] offset:24 glc
	s_waitcnt vmcnt(0)
	buffer_gl1_inv
	buffer_gl0_inv
	v_cmp_eq_u64_e32 vcc_lo, v[14:15], v[16:17]
	s_or_b32 s7, vcc_lo, s7
	s_delay_alu instid0(SALU_CYCLE_1)
	s_and_not1_b32 exec_lo, exec_lo, s7
	s_cbranch_execnz .LBB0_167
; %bb.168:                              ;   in Loop: Header=BB0_38 Depth=1
	s_or_b32 exec_lo, exec_lo, s7
.LBB0_169:                              ;   in Loop: Header=BB0_38 Depth=1
	s_delay_alu instid0(SALU_CYCLE_1)
	s_or_b32 exec_lo, exec_lo, s6
.LBB0_170:                              ;   in Loop: Header=BB0_38 Depth=1
	s_delay_alu instid0(SALU_CYCLE_1)
	s_or_b32 exec_lo, exec_lo, s5
	s_clause 0x1
	global_load_b64 v[20:21], v34, s[2:3] offset:40
	global_load_b128 v[16:19], v34, s[2:3]
	v_readfirstlane_b32 s10, v14
	v_readfirstlane_b32 s11, v15
	s_mov_b32 s5, exec_lo
	s_waitcnt vmcnt(1)
	v_readfirstlane_b32 s6, v20
	v_readfirstlane_b32 s7, v21
	s_delay_alu instid0(VALU_DEP_1) | instskip(NEXT) | instid1(SALU_CYCLE_1)
	s_and_b64 s[6:7], s[10:11], s[6:7]
	s_mul_i32 s12, s7, 24
	s_mul_hi_u32 s13, s6, 24
	s_mul_i32 s14, s6, 24
	s_add_i32 s13, s13, s12
	s_waitcnt vmcnt(0)
	v_add_co_u32 v20, vcc_lo, v16, s14
	v_add_co_ci_u32_e32 v21, vcc_lo, s13, v17, vcc_lo
	s_and_saveexec_b32 s12, s1
	s_cbranch_execz .LBB0_172
; %bb.171:                              ;   in Loop: Header=BB0_38 Depth=1
	v_mov_b32_e32 v7, s5
	global_store_b128 v[20:21], v[7:10], off offset:8
.LBB0_172:                              ;   in Loop: Header=BB0_38 Depth=1
	s_or_b32 exec_lo, exec_lo, s12
	s_lshl_b64 s[6:7], s[6:7], 12
	s_mov_b32 s5, s4
	v_add_co_u32 v7, vcc_lo, v18, s6
	v_add_co_ci_u32_e32 v18, vcc_lo, s7, v19, vcc_lo
	s_mov_b32 s7, s4
	s_mov_b32 s6, s4
	v_and_or_b32 v12, 0xffffff1d, v12, 34
	v_dual_mov_b32 v14, v8 :: v_dual_mov_b32 v25, s7
	v_dual_mov_b32 v15, v8 :: v_dual_mov_b32 v24, s6
	v_readfirstlane_b32 s12, v7
	v_readfirstlane_b32 s13, v18
	v_dual_mov_b32 v23, s5 :: v_dual_mov_b32 v22, s4
	s_clause 0x3
	global_store_b128 v49, v[12:15], s[12:13]
	global_store_b128 v49, v[22:25], s[12:13] offset:16
	global_store_b128 v49, v[22:25], s[12:13] offset:32
	global_store_b128 v49, v[22:25], s[12:13] offset:48
	s_and_saveexec_b32 s5, s1
	s_cbranch_execz .LBB0_180
; %bb.173:                              ;   in Loop: Header=BB0_38 Depth=1
	s_clause 0x1
	global_load_b64 v[24:25], v34, s[2:3] offset:32 glc
	global_load_b64 v[12:13], v34, s[2:3] offset:40
	v_dual_mov_b32 v22, s10 :: v_dual_mov_b32 v23, s11
	s_waitcnt vmcnt(0)
	v_readfirstlane_b32 s6, v12
	v_readfirstlane_b32 s7, v13
	s_delay_alu instid0(VALU_DEP_1) | instskip(NEXT) | instid1(SALU_CYCLE_1)
	s_and_b64 s[6:7], s[6:7], s[10:11]
	s_mul_i32 s7, s7, 24
	s_mul_hi_u32 s12, s6, 24
	s_mul_i32 s6, s6, 24
	s_add_i32 s12, s12, s7
	v_add_co_u32 v16, vcc_lo, v16, s6
	v_add_co_ci_u32_e32 v17, vcc_lo, s12, v17, vcc_lo
	s_mov_b32 s6, exec_lo
	global_store_b64 v[16:17], v[24:25], off
	s_waitcnt_vscnt null, 0x0
	global_atomic_cmpswap_b64 v[14:15], v34, v[22:25], s[2:3] offset:32 glc
	s_waitcnt vmcnt(0)
	v_cmpx_ne_u64_e64 v[14:15], v[24:25]
	s_cbranch_execz .LBB0_176
; %bb.174:                              ;   in Loop: Header=BB0_38 Depth=1
	s_mov_b32 s7, 0
.LBB0_175:                              ;   Parent Loop BB0_38 Depth=1
                                        ; =>  This Inner Loop Header: Depth=2
	v_dual_mov_b32 v12, s10 :: v_dual_mov_b32 v13, s11
	s_sleep 1
	global_store_b64 v[16:17], v[14:15], off
	s_waitcnt_vscnt null, 0x0
	global_atomic_cmpswap_b64 v[12:13], v34, v[12:15], s[2:3] offset:32 glc
	s_waitcnt vmcnt(0)
	v_cmp_eq_u64_e32 vcc_lo, v[12:13], v[14:15]
	v_dual_mov_b32 v15, v13 :: v_dual_mov_b32 v14, v12
	s_or_b32 s7, vcc_lo, s7
	s_delay_alu instid0(SALU_CYCLE_1)
	s_and_not1_b32 exec_lo, exec_lo, s7
	s_cbranch_execnz .LBB0_175
.LBB0_176:                              ;   in Loop: Header=BB0_38 Depth=1
	s_or_b32 exec_lo, exec_lo, s6
	global_load_b64 v[12:13], v34, s[2:3] offset:16
	s_mov_b32 s7, exec_lo
	s_mov_b32 s6, exec_lo
	v_mbcnt_lo_u32_b32 v7, s7, 0
	s_delay_alu instid0(VALU_DEP_1)
	v_cmpx_eq_u32_e32 0, v7
	s_cbranch_execz .LBB0_178
; %bb.177:                              ;   in Loop: Header=BB0_38 Depth=1
	s_bcnt1_i32_b32 s7, s7
	s_delay_alu instid0(SALU_CYCLE_1)
	v_mov_b32_e32 v7, s7
	s_waitcnt vmcnt(0)
	global_atomic_add_u64 v[12:13], v[7:8], off offset:8
.LBB0_178:                              ;   in Loop: Header=BB0_38 Depth=1
	s_or_b32 exec_lo, exec_lo, s6
	s_waitcnt vmcnt(0)
	global_load_b64 v[14:15], v[12:13], off offset:16
	s_waitcnt vmcnt(0)
	v_cmp_eq_u64_e32 vcc_lo, 0, v[14:15]
	s_cbranch_vccnz .LBB0_180
; %bb.179:                              ;   in Loop: Header=BB0_38 Depth=1
	global_load_b32 v33, v[12:13], off offset:24
	s_waitcnt vmcnt(0)
	v_and_b32_e32 v7, 0xffffff, v33
	s_waitcnt_vscnt null, 0x0
	global_store_b64 v[14:15], v[33:34], off
	v_readfirstlane_b32 m0, v7
	s_sendmsg sendmsg(MSG_INTERRUPT)
.LBB0_180:                              ;   in Loop: Header=BB0_38 Depth=1
	s_or_b32 exec_lo, exec_lo, s5
	s_branch .LBB0_184
	.p2align	6
.LBB0_181:                              ;   in Loop: Header=BB0_184 Depth=2
	s_or_b32 exec_lo, exec_lo, s5
	s_delay_alu instid0(VALU_DEP_1) | instskip(NEXT) | instid1(VALU_DEP_1)
	v_readfirstlane_b32 s5, v7
	s_cmp_eq_u32 s5, 0
	s_cbranch_scc1 .LBB0_183
; %bb.182:                              ;   in Loop: Header=BB0_184 Depth=2
	s_sleep 1
	s_cbranch_execnz .LBB0_184
	s_branch .LBB0_186
	.p2align	6
.LBB0_183:                              ;   in Loop: Header=BB0_38 Depth=1
	s_branch .LBB0_186
.LBB0_184:                              ;   Parent Loop BB0_38 Depth=1
                                        ; =>  This Inner Loop Header: Depth=2
	v_mov_b32_e32 v7, 1
	s_and_saveexec_b32 s5, s1
	s_cbranch_execz .LBB0_181
; %bb.185:                              ;   in Loop: Header=BB0_184 Depth=2
	global_load_b32 v7, v[20:21], off offset:20 glc
	s_waitcnt vmcnt(0)
	buffer_gl1_inv
	buffer_gl0_inv
	v_and_b32_e32 v7, 1, v7
	s_branch .LBB0_181
.LBB0_186:                              ;   in Loop: Header=BB0_38 Depth=1
	s_and_saveexec_b32 s5, s1
	s_cbranch_execz .LBB0_190
; %bb.187:                              ;   in Loop: Header=BB0_38 Depth=1
	s_clause 0x2
	global_load_b64 v[14:15], v34, s[2:3] offset:40
	global_load_b64 v[18:19], v34, s[2:3] offset:24 glc
	global_load_b64 v[16:17], v34, s[2:3]
	s_waitcnt vmcnt(2)
	v_add_co_u32 v7, vcc_lo, v14, 1
	v_add_co_ci_u32_e32 v20, vcc_lo, 0, v15, vcc_lo
	s_delay_alu instid0(VALU_DEP_2) | instskip(NEXT) | instid1(VALU_DEP_2)
	v_add_co_u32 v12, vcc_lo, v7, s10
	v_add_co_ci_u32_e32 v13, vcc_lo, s11, v20, vcc_lo
	s_delay_alu instid0(VALU_DEP_1) | instskip(SKIP_1) | instid1(VALU_DEP_1)
	v_cmp_eq_u64_e32 vcc_lo, 0, v[12:13]
	v_dual_cndmask_b32 v13, v13, v20 :: v_dual_cndmask_b32 v12, v12, v7
	v_and_b32_e32 v7, v13, v15
	s_delay_alu instid0(VALU_DEP_2) | instskip(NEXT) | instid1(VALU_DEP_1)
	v_and_b32_e32 v14, v12, v14
	v_mul_hi_u32 v15, v14, 24
	v_mul_lo_u32 v14, v14, 24
	s_waitcnt vmcnt(0)
	s_delay_alu instid0(VALU_DEP_1) | instskip(SKIP_2) | instid1(VALU_DEP_1)
	v_add_co_u32 v16, vcc_lo, v16, v14
	v_mov_b32_e32 v14, v18
	v_mul_lo_u32 v7, v7, 24
	v_add_nc_u32_e32 v7, v15, v7
	v_mov_b32_e32 v15, v19
	s_delay_alu instid0(VALU_DEP_2)
	v_add_co_ci_u32_e32 v17, vcc_lo, v17, v7, vcc_lo
	global_store_b64 v[16:17], v[18:19], off
	s_waitcnt_vscnt null, 0x0
	global_atomic_cmpswap_b64 v[14:15], v34, v[12:15], s[2:3] offset:24 glc
	s_waitcnt vmcnt(0)
	v_cmp_ne_u64_e32 vcc_lo, v[14:15], v[18:19]
	s_and_b32 exec_lo, exec_lo, vcc_lo
	s_cbranch_execz .LBB0_190
; %bb.188:                              ;   in Loop: Header=BB0_38 Depth=1
	s_mov_b32 s1, 0
.LBB0_189:                              ;   Parent Loop BB0_38 Depth=1
                                        ; =>  This Inner Loop Header: Depth=2
	s_sleep 1
	global_store_b64 v[16:17], v[14:15], off
	s_waitcnt_vscnt null, 0x0
	global_atomic_cmpswap_b64 v[18:19], v34, v[12:15], s[2:3] offset:24 glc
	s_waitcnt vmcnt(0)
	v_cmp_eq_u64_e32 vcc_lo, v[18:19], v[14:15]
	v_dual_mov_b32 v14, v18 :: v_dual_mov_b32 v15, v19
	s_or_b32 s1, vcc_lo, s1
	s_delay_alu instid0(SALU_CYCLE_1)
	s_and_not1_b32 exec_lo, exec_lo, s1
	s_cbranch_execnz .LBB0_189
.LBB0_190:                              ;   in Loop: Header=BB0_38 Depth=1
	s_or_b32 exec_lo, exec_lo, s5
.LBB0_191:                              ;   in Loop: Header=BB0_38 Depth=1
	v_readfirstlane_b32 s1, v37
	s_waitcnt vmcnt(0)
	v_mov_b32_e32 v12, 0
	v_mov_b32_e32 v13, 0
	s_delay_alu instid0(VALU_DEP_3) | instskip(NEXT) | instid1(VALU_DEP_1)
	v_cmp_eq_u32_e64 s1, s1, v37
	s_and_saveexec_b32 s5, s1
	s_cbranch_execz .LBB0_197
; %bb.192:                              ;   in Loop: Header=BB0_38 Depth=1
	global_load_b64 v[14:15], v34, s[2:3] offset:24 glc
	s_waitcnt vmcnt(0)
	buffer_gl1_inv
	buffer_gl0_inv
	s_clause 0x1
	global_load_b64 v[12:13], v34, s[2:3] offset:40
	global_load_b64 v[16:17], v34, s[2:3]
	s_mov_b32 s6, exec_lo
	s_waitcnt vmcnt(1)
	v_and_b32_e32 v7, v13, v15
	v_and_b32_e32 v12, v12, v14
	s_delay_alu instid0(VALU_DEP_2) | instskip(NEXT) | instid1(VALU_DEP_2)
	v_mul_lo_u32 v7, v7, 24
	v_mul_hi_u32 v13, v12, 24
	v_mul_lo_u32 v12, v12, 24
	s_delay_alu instid0(VALU_DEP_2) | instskip(SKIP_1) | instid1(VALU_DEP_2)
	v_add_nc_u32_e32 v7, v13, v7
	s_waitcnt vmcnt(0)
	v_add_co_u32 v12, vcc_lo, v16, v12
	s_delay_alu instid0(VALU_DEP_2)
	v_add_co_ci_u32_e32 v13, vcc_lo, v17, v7, vcc_lo
	global_load_b64 v[12:13], v[12:13], off glc
	s_waitcnt vmcnt(0)
	global_atomic_cmpswap_b64 v[12:13], v34, v[12:15], s[2:3] offset:24 glc
	s_waitcnt vmcnt(0)
	buffer_gl1_inv
	buffer_gl0_inv
	v_cmpx_ne_u64_e64 v[12:13], v[14:15]
	s_cbranch_execz .LBB0_196
; %bb.193:                              ;   in Loop: Header=BB0_38 Depth=1
	s_mov_b32 s7, 0
	.p2align	6
.LBB0_194:                              ;   Parent Loop BB0_38 Depth=1
                                        ; =>  This Inner Loop Header: Depth=2
	s_sleep 1
	s_clause 0x1
	global_load_b64 v[16:17], v34, s[2:3] offset:40
	global_load_b64 v[18:19], v34, s[2:3]
	v_dual_mov_b32 v15, v13 :: v_dual_mov_b32 v14, v12
	s_waitcnt vmcnt(1)
	s_delay_alu instid0(VALU_DEP_1) | instskip(SKIP_1) | instid1(VALU_DEP_1)
	v_and_b32_e32 v7, v16, v14
	s_waitcnt vmcnt(0)
	v_mad_u64_u32 v[12:13], null, v7, 24, v[18:19]
	v_and_b32_e32 v18, v17, v15
	s_delay_alu instid0(VALU_DEP_2) | instskip(NEXT) | instid1(VALU_DEP_1)
	v_mov_b32_e32 v7, v13
	v_mad_u64_u32 v[16:17], null, v18, 24, v[7:8]
	s_delay_alu instid0(VALU_DEP_1)
	v_mov_b32_e32 v13, v16
	global_load_b64 v[12:13], v[12:13], off glc
	s_waitcnt vmcnt(0)
	global_atomic_cmpswap_b64 v[12:13], v34, v[12:15], s[2:3] offset:24 glc
	s_waitcnt vmcnt(0)
	buffer_gl1_inv
	buffer_gl0_inv
	v_cmp_eq_u64_e32 vcc_lo, v[12:13], v[14:15]
	s_or_b32 s7, vcc_lo, s7
	s_delay_alu instid0(SALU_CYCLE_1)
	s_and_not1_b32 exec_lo, exec_lo, s7
	s_cbranch_execnz .LBB0_194
; %bb.195:                              ;   in Loop: Header=BB0_38 Depth=1
	s_or_b32 exec_lo, exec_lo, s7
.LBB0_196:                              ;   in Loop: Header=BB0_38 Depth=1
	s_delay_alu instid0(SALU_CYCLE_1)
	s_or_b32 exec_lo, exec_lo, s6
.LBB0_197:                              ;   in Loop: Header=BB0_38 Depth=1
	s_delay_alu instid0(SALU_CYCLE_1)
	s_or_b32 exec_lo, exec_lo, s5
	s_clause 0x1
	global_load_b64 v[19:20], v34, s[2:3] offset:40
	global_load_b128 v[15:18], v34, s[2:3]
	v_readfirstlane_b32 s10, v12
	v_readfirstlane_b32 s11, v13
	s_mov_b32 s5, exec_lo
	s_waitcnt vmcnt(1)
	v_readfirstlane_b32 s6, v19
	v_readfirstlane_b32 s7, v20
	s_delay_alu instid0(VALU_DEP_1) | instskip(NEXT) | instid1(SALU_CYCLE_1)
	s_and_b64 s[6:7], s[10:11], s[6:7]
	s_mul_i32 s12, s7, 24
	s_mul_hi_u32 s13, s6, 24
	s_mul_i32 s14, s6, 24
	s_add_i32 s13, s13, s12
	s_waitcnt vmcnt(0)
	v_add_co_u32 v19, vcc_lo, v15, s14
	v_add_co_ci_u32_e32 v20, vcc_lo, s13, v16, vcc_lo
	s_and_saveexec_b32 s12, s1
	s_cbranch_execz .LBB0_199
; %bb.198:                              ;   in Loop: Header=BB0_38 Depth=1
	v_mov_b32_e32 v7, s5
	global_store_b128 v[19:20], v[7:10], off offset:8
.LBB0_199:                              ;   in Loop: Header=BB0_38 Depth=1
	s_or_b32 exec_lo, exec_lo, s12
	s_lshl_b64 s[6:7], s[6:7], 12
	s_mov_b32 s5, s4
	v_add_co_u32 v21, vcc_lo, v17, s6
	v_add_co_ci_u32_e32 v22, vcc_lo, s7, v18, vcc_lo
	s_mov_b32 s7, s4
	s_mov_b32 s6, s4
	v_mov_b32_e32 v12, v8
	v_dual_mov_b32 v13, v8 :: v_dual_mov_b32 v26, s7
	v_dual_mov_b32 v14, v8 :: v_dual_mov_b32 v23, s4
	v_readfirstlane_b32 s12, v21
	v_readfirstlane_b32 s13, v22
	v_dual_mov_b32 v25, s6 :: v_dual_mov_b32 v24, s5
	s_clause 0x3
	global_store_b128 v49, v[11:14], s[12:13]
	global_store_b128 v49, v[23:26], s[12:13] offset:16
	global_store_b128 v49, v[23:26], s[12:13] offset:32
	;; [unrolled: 1-line block ×3, first 2 shown]
	s_and_saveexec_b32 s5, s1
	s_cbranch_execz .LBB0_207
; %bb.200:                              ;   in Loop: Header=BB0_38 Depth=1
	s_clause 0x1
	global_load_b64 v[25:26], v34, s[2:3] offset:32 glc
	global_load_b64 v[12:13], v34, s[2:3] offset:40
	v_dual_mov_b32 v23, s10 :: v_dual_mov_b32 v24, s11
	s_waitcnt vmcnt(0)
	v_readfirstlane_b32 s6, v12
	v_readfirstlane_b32 s7, v13
	s_delay_alu instid0(VALU_DEP_1) | instskip(NEXT) | instid1(SALU_CYCLE_1)
	s_and_b64 s[6:7], s[6:7], s[10:11]
	s_mul_i32 s7, s7, 24
	s_mul_hi_u32 s12, s6, 24
	s_mul_i32 s6, s6, 24
	s_add_i32 s12, s12, s7
	v_add_co_u32 v17, vcc_lo, v15, s6
	v_add_co_ci_u32_e32 v18, vcc_lo, s12, v16, vcc_lo
	s_mov_b32 s6, exec_lo
	global_store_b64 v[17:18], v[25:26], off
	s_waitcnt_vscnt null, 0x0
	global_atomic_cmpswap_b64 v[14:15], v34, v[23:26], s[2:3] offset:32 glc
	s_waitcnt vmcnt(0)
	v_cmpx_ne_u64_e64 v[14:15], v[25:26]
	s_cbranch_execz .LBB0_203
; %bb.201:                              ;   in Loop: Header=BB0_38 Depth=1
	s_mov_b32 s7, 0
.LBB0_202:                              ;   Parent Loop BB0_38 Depth=1
                                        ; =>  This Inner Loop Header: Depth=2
	v_dual_mov_b32 v12, s10 :: v_dual_mov_b32 v13, s11
	s_sleep 1
	global_store_b64 v[17:18], v[14:15], off
	s_waitcnt_vscnt null, 0x0
	global_atomic_cmpswap_b64 v[12:13], v34, v[12:15], s[2:3] offset:32 glc
	s_waitcnt vmcnt(0)
	v_cmp_eq_u64_e32 vcc_lo, v[12:13], v[14:15]
	v_dual_mov_b32 v15, v13 :: v_dual_mov_b32 v14, v12
	s_or_b32 s7, vcc_lo, s7
	s_delay_alu instid0(SALU_CYCLE_1)
	s_and_not1_b32 exec_lo, exec_lo, s7
	s_cbranch_execnz .LBB0_202
.LBB0_203:                              ;   in Loop: Header=BB0_38 Depth=1
	s_or_b32 exec_lo, exec_lo, s6
	global_load_b64 v[12:13], v34, s[2:3] offset:16
	s_mov_b32 s7, exec_lo
	s_mov_b32 s6, exec_lo
	v_mbcnt_lo_u32_b32 v7, s7, 0
	s_delay_alu instid0(VALU_DEP_1)
	v_cmpx_eq_u32_e32 0, v7
	s_cbranch_execz .LBB0_205
; %bb.204:                              ;   in Loop: Header=BB0_38 Depth=1
	s_bcnt1_i32_b32 s7, s7
	s_delay_alu instid0(SALU_CYCLE_1)
	v_mov_b32_e32 v7, s7
	s_waitcnt vmcnt(0)
	global_atomic_add_u64 v[12:13], v[7:8], off offset:8
.LBB0_205:                              ;   in Loop: Header=BB0_38 Depth=1
	s_or_b32 exec_lo, exec_lo, s6
	s_waitcnt vmcnt(0)
	global_load_b64 v[14:15], v[12:13], off offset:16
	s_waitcnt vmcnt(0)
	v_cmp_eq_u64_e32 vcc_lo, 0, v[14:15]
	s_cbranch_vccnz .LBB0_207
; %bb.206:                              ;   in Loop: Header=BB0_38 Depth=1
	global_load_b32 v33, v[12:13], off offset:24
	s_waitcnt vmcnt(0)
	v_and_b32_e32 v7, 0xffffff, v33
	s_waitcnt_vscnt null, 0x0
	global_store_b64 v[14:15], v[33:34], off
	v_readfirstlane_b32 m0, v7
	s_sendmsg sendmsg(MSG_INTERRUPT)
.LBB0_207:                              ;   in Loop: Header=BB0_38 Depth=1
	s_or_b32 exec_lo, exec_lo, s5
	v_add_co_u32 v12, vcc_lo, v21, v49
	v_add_co_ci_u32_e32 v13, vcc_lo, 0, v22, vcc_lo
	s_branch .LBB0_211
	.p2align	6
.LBB0_208:                              ;   in Loop: Header=BB0_211 Depth=2
	s_or_b32 exec_lo, exec_lo, s5
	s_delay_alu instid0(VALU_DEP_1) | instskip(NEXT) | instid1(VALU_DEP_1)
	v_readfirstlane_b32 s5, v7
	s_cmp_eq_u32 s5, 0
	s_cbranch_scc1 .LBB0_210
; %bb.209:                              ;   in Loop: Header=BB0_211 Depth=2
	s_sleep 1
	s_cbranch_execnz .LBB0_211
	s_branch .LBB0_213
	.p2align	6
.LBB0_210:                              ;   in Loop: Header=BB0_38 Depth=1
	s_branch .LBB0_213
.LBB0_211:                              ;   Parent Loop BB0_38 Depth=1
                                        ; =>  This Inner Loop Header: Depth=2
	v_mov_b32_e32 v7, 1
	s_and_saveexec_b32 s5, s1
	s_cbranch_execz .LBB0_208
; %bb.212:                              ;   in Loop: Header=BB0_211 Depth=2
	global_load_b32 v7, v[19:20], off offset:20 glc
	s_waitcnt vmcnt(0)
	buffer_gl1_inv
	buffer_gl0_inv
	v_and_b32_e32 v7, 1, v7
	s_branch .LBB0_208
.LBB0_213:                              ;   in Loop: Header=BB0_38 Depth=1
	global_load_b64 v[12:13], v[12:13], off
	s_and_saveexec_b32 s5, s1
	s_cbranch_execz .LBB0_217
; %bb.214:                              ;   in Loop: Header=BB0_38 Depth=1
	s_clause 0x2
	global_load_b64 v[16:17], v34, s[2:3] offset:40
	global_load_b64 v[20:21], v34, s[2:3] offset:24 glc
	global_load_b64 v[18:19], v34, s[2:3]
	s_waitcnt vmcnt(2)
	v_add_co_u32 v7, vcc_lo, v16, 1
	v_add_co_ci_u32_e32 v22, vcc_lo, 0, v17, vcc_lo
	s_delay_alu instid0(VALU_DEP_2) | instskip(NEXT) | instid1(VALU_DEP_2)
	v_add_co_u32 v14, vcc_lo, v7, s10
	v_add_co_ci_u32_e32 v15, vcc_lo, s11, v22, vcc_lo
	s_delay_alu instid0(VALU_DEP_1) | instskip(SKIP_1) | instid1(VALU_DEP_1)
	v_cmp_eq_u64_e32 vcc_lo, 0, v[14:15]
	v_dual_cndmask_b32 v15, v15, v22 :: v_dual_cndmask_b32 v14, v14, v7
	v_and_b32_e32 v7, v15, v17
	s_delay_alu instid0(VALU_DEP_2) | instskip(NEXT) | instid1(VALU_DEP_1)
	v_and_b32_e32 v16, v14, v16
	v_mul_hi_u32 v17, v16, 24
	v_mul_lo_u32 v16, v16, 24
	s_waitcnt vmcnt(0)
	s_delay_alu instid0(VALU_DEP_1) | instskip(SKIP_2) | instid1(VALU_DEP_1)
	v_add_co_u32 v18, vcc_lo, v18, v16
	v_mov_b32_e32 v16, v20
	v_mul_lo_u32 v7, v7, 24
	v_add_nc_u32_e32 v7, v17, v7
	v_mov_b32_e32 v17, v21
	s_delay_alu instid0(VALU_DEP_2)
	v_add_co_ci_u32_e32 v19, vcc_lo, v19, v7, vcc_lo
	global_store_b64 v[18:19], v[20:21], off
	s_waitcnt_vscnt null, 0x0
	global_atomic_cmpswap_b64 v[16:17], v34, v[14:17], s[2:3] offset:24 glc
	s_waitcnt vmcnt(0)
	v_cmp_ne_u64_e32 vcc_lo, v[16:17], v[20:21]
	s_and_b32 exec_lo, exec_lo, vcc_lo
	s_cbranch_execz .LBB0_217
; %bb.215:                              ;   in Loop: Header=BB0_38 Depth=1
	s_mov_b32 s1, 0
.LBB0_216:                              ;   Parent Loop BB0_38 Depth=1
                                        ; =>  This Inner Loop Header: Depth=2
	s_sleep 1
	global_store_b64 v[18:19], v[16:17], off
	s_waitcnt_vscnt null, 0x0
	global_atomic_cmpswap_b64 v[20:21], v34, v[14:17], s[2:3] offset:24 glc
	s_waitcnt vmcnt(0)
	v_cmp_eq_u64_e32 vcc_lo, v[20:21], v[16:17]
	v_dual_mov_b32 v16, v20 :: v_dual_mov_b32 v17, v21
	s_or_b32 s1, vcc_lo, s1
	s_delay_alu instid0(SALU_CYCLE_1)
	s_and_not1_b32 exec_lo, exec_lo, s1
	s_cbranch_execnz .LBB0_216
.LBB0_217:                              ;   in Loop: Header=BB0_38 Depth=1
	s_or_b32 exec_lo, exec_lo, s5
	s_delay_alu instid0(SALU_CYCLE_1)
	s_and_b32 vcc_lo, exec_lo, s20
	s_cbranch_vccz .LBB0_296
; %bb.218:                              ;   in Loop: Header=BB0_38 Depth=1
	s_waitcnt vmcnt(0)
	v_dual_mov_b32 v15, v13 :: v_dual_and_b32 v14, -3, v12
	s_mov_b64 s[10:11], 39
	s_getpc_b64 s[6:7]
	s_add_u32 s6, s6, .str.2@rel32@lo+4
	s_addc_u32 s7, s7, .str.2@rel32@hi+12
	s_branch .LBB0_220
.LBB0_219:                              ;   in Loop: Header=BB0_220 Depth=2
	s_or_b32 exec_lo, exec_lo, s5
	s_sub_u32 s10, s10, s12
	s_subb_u32 s11, s11, s13
	s_add_u32 s6, s6, s12
	s_addc_u32 s7, s7, s13
	s_cmp_lg_u64 s[10:11], 0
	s_cbranch_scc0 .LBB0_295
.LBB0_220:                              ;   Parent Loop BB0_38 Depth=1
                                        ; =>  This Loop Header: Depth=2
                                        ;       Child Loop BB0_223 Depth 3
                                        ;       Child Loop BB0_230 Depth 3
	;; [unrolled: 1-line block ×11, first 2 shown]
	v_cmp_lt_u64_e64 s1, s[10:11], 56
	v_cmp_gt_u64_e64 s5, s[10:11], 7
	s_delay_alu instid0(VALU_DEP_2) | instskip(SKIP_2) | instid1(VALU_DEP_1)
	s_and_b32 s1, s1, exec_lo
	s_cselect_b32 s13, s11, 0
	s_cselect_b32 s12, s10, 56
	s_and_b32 vcc_lo, exec_lo, s5
	s_cbranch_vccnz .LBB0_225
; %bb.221:                              ;   in Loop: Header=BB0_220 Depth=2
	s_waitcnt vmcnt(0)
	v_mov_b32_e32 v16, 0
	v_mov_b32_e32 v17, 0
	s_cmp_eq_u64 s[10:11], 0
	s_mov_b64 s[14:15], 0
	s_cbranch_scc1 .LBB0_224
; %bb.222:                              ;   in Loop: Header=BB0_220 Depth=2
	v_mov_b32_e32 v16, 0
	v_mov_b32_e32 v17, 0
	s_lshl_b64 s[16:17], s[12:13], 3
	s_mov_b64 s[18:19], s[6:7]
.LBB0_223:                              ;   Parent Loop BB0_38 Depth=1
                                        ;     Parent Loop BB0_220 Depth=2
                                        ; =>    This Inner Loop Header: Depth=3
	global_load_u8 v7, v34, s[18:19]
	s_waitcnt vmcnt(0)
	v_and_b32_e32 v33, 0xffff, v7
	s_delay_alu instid0(VALU_DEP_1)
	v_lshlrev_b64 v[18:19], s14, v[33:34]
	s_add_u32 s14, s14, 8
	s_addc_u32 s15, s15, 0
	s_add_u32 s18, s18, 1
	s_addc_u32 s19, s19, 0
	s_cmp_lg_u32 s16, s14
	v_or_b32_e32 v16, v18, v16
	v_or_b32_e32 v17, v19, v17
	s_cbranch_scc1 .LBB0_223
.LBB0_224:                              ;   in Loop: Header=BB0_220 Depth=2
	s_mov_b32 s1, 0
	s_mov_b64 s[14:15], s[6:7]
	s_cbranch_execz .LBB0_226
	s_branch .LBB0_227
.LBB0_225:                              ;   in Loop: Header=BB0_220 Depth=2
                                        ; implicit-def: $sgpr1
	s_mov_b64 s[14:15], s[6:7]
.LBB0_226:                              ;   in Loop: Header=BB0_220 Depth=2
	global_load_b64 v[16:17], v34, s[6:7]
	s_add_i32 s1, s12, -8
	s_add_u32 s14, s6, 8
	s_addc_u32 s15, s7, 0
.LBB0_227:                              ;   in Loop: Header=BB0_220 Depth=2
	s_cmp_gt_u32 s1, 7
	s_cbranch_scc1 .LBB0_232
; %bb.228:                              ;   in Loop: Header=BB0_220 Depth=2
	v_mov_b32_e32 v18, 0
	v_mov_b32_e32 v19, 0
	s_cmp_eq_u32 s1, 0
	s_cbranch_scc1 .LBB0_231
; %bb.229:                              ;   in Loop: Header=BB0_220 Depth=2
	s_mov_b64 s[16:17], 0
	s_mov_b64 s[18:19], 0
.LBB0_230:                              ;   Parent Loop BB0_38 Depth=1
                                        ;     Parent Loop BB0_220 Depth=2
                                        ; =>    This Inner Loop Header: Depth=3
	s_delay_alu instid0(SALU_CYCLE_1)
	s_add_u32 s24, s14, s18
	s_addc_u32 s25, s15, s19
	s_add_u32 s18, s18, 1
	global_load_u8 v7, v34, s[24:25]
	s_addc_u32 s19, s19, 0
	s_waitcnt vmcnt(0)
	v_and_b32_e32 v33, 0xffff, v7
	s_delay_alu instid0(VALU_DEP_1) | instskip(SKIP_3) | instid1(VALU_DEP_1)
	v_lshlrev_b64 v[20:21], s16, v[33:34]
	s_add_u32 s16, s16, 8
	s_addc_u32 s17, s17, 0
	s_cmp_lg_u32 s1, s18
	v_or_b32_e32 v18, v20, v18
	s_delay_alu instid0(VALU_DEP_2)
	v_or_b32_e32 v19, v21, v19
	s_cbranch_scc1 .LBB0_230
.LBB0_231:                              ;   in Loop: Header=BB0_220 Depth=2
	s_mov_b32 s5, 0
	s_cbranch_execz .LBB0_233
	s_branch .LBB0_234
.LBB0_232:                              ;   in Loop: Header=BB0_220 Depth=2
                                        ; implicit-def: $vgpr18_vgpr19
                                        ; implicit-def: $sgpr5
.LBB0_233:                              ;   in Loop: Header=BB0_220 Depth=2
	global_load_b64 v[18:19], v34, s[14:15]
	s_add_i32 s5, s1, -8
	s_add_u32 s14, s14, 8
	s_addc_u32 s15, s15, 0
.LBB0_234:                              ;   in Loop: Header=BB0_220 Depth=2
	s_cmp_gt_u32 s5, 7
	s_cbranch_scc1 .LBB0_239
; %bb.235:                              ;   in Loop: Header=BB0_220 Depth=2
	v_mov_b32_e32 v20, 0
	v_mov_b32_e32 v21, 0
	s_cmp_eq_u32 s5, 0
	s_cbranch_scc1 .LBB0_238
; %bb.236:                              ;   in Loop: Header=BB0_220 Depth=2
	s_mov_b64 s[16:17], 0
	s_mov_b64 s[18:19], 0
.LBB0_237:                              ;   Parent Loop BB0_38 Depth=1
                                        ;     Parent Loop BB0_220 Depth=2
                                        ; =>    This Inner Loop Header: Depth=3
	s_delay_alu instid0(SALU_CYCLE_1)
	s_add_u32 s24, s14, s18
	s_addc_u32 s25, s15, s19
	s_add_u32 s18, s18, 1
	global_load_u8 v7, v34, s[24:25]
	s_addc_u32 s19, s19, 0
	s_waitcnt vmcnt(0)
	v_and_b32_e32 v33, 0xffff, v7
	s_delay_alu instid0(VALU_DEP_1) | instskip(SKIP_3) | instid1(VALU_DEP_1)
	v_lshlrev_b64 v[22:23], s16, v[33:34]
	s_add_u32 s16, s16, 8
	s_addc_u32 s17, s17, 0
	s_cmp_lg_u32 s5, s18
	v_or_b32_e32 v20, v22, v20
	s_delay_alu instid0(VALU_DEP_2)
	v_or_b32_e32 v21, v23, v21
	s_cbranch_scc1 .LBB0_237
.LBB0_238:                              ;   in Loop: Header=BB0_220 Depth=2
	s_mov_b32 s1, 0
	s_cbranch_execz .LBB0_240
	s_branch .LBB0_241
.LBB0_239:                              ;   in Loop: Header=BB0_220 Depth=2
                                        ; implicit-def: $sgpr1
.LBB0_240:                              ;   in Loop: Header=BB0_220 Depth=2
	global_load_b64 v[20:21], v34, s[14:15]
	s_add_i32 s1, s5, -8
	s_add_u32 s14, s14, 8
	s_addc_u32 s15, s15, 0
.LBB0_241:                              ;   in Loop: Header=BB0_220 Depth=2
	s_cmp_gt_u32 s1, 7
	s_cbranch_scc1 .LBB0_246
; %bb.242:                              ;   in Loop: Header=BB0_220 Depth=2
	v_mov_b32_e32 v22, 0
	v_mov_b32_e32 v23, 0
	s_cmp_eq_u32 s1, 0
	s_cbranch_scc1 .LBB0_245
; %bb.243:                              ;   in Loop: Header=BB0_220 Depth=2
	s_mov_b64 s[16:17], 0
	s_mov_b64 s[18:19], 0
.LBB0_244:                              ;   Parent Loop BB0_38 Depth=1
                                        ;     Parent Loop BB0_220 Depth=2
                                        ; =>    This Inner Loop Header: Depth=3
	s_delay_alu instid0(SALU_CYCLE_1)
	s_add_u32 s24, s14, s18
	s_addc_u32 s25, s15, s19
	s_add_u32 s18, s18, 1
	global_load_u8 v7, v34, s[24:25]
	s_addc_u32 s19, s19, 0
	s_waitcnt vmcnt(0)
	v_and_b32_e32 v33, 0xffff, v7
	s_delay_alu instid0(VALU_DEP_1) | instskip(SKIP_3) | instid1(VALU_DEP_1)
	v_lshlrev_b64 v[24:25], s16, v[33:34]
	s_add_u32 s16, s16, 8
	s_addc_u32 s17, s17, 0
	s_cmp_lg_u32 s1, s18
	v_or_b32_e32 v22, v24, v22
	s_delay_alu instid0(VALU_DEP_2)
	v_or_b32_e32 v23, v25, v23
	s_cbranch_scc1 .LBB0_244
.LBB0_245:                              ;   in Loop: Header=BB0_220 Depth=2
	s_mov_b32 s5, 0
	s_cbranch_execz .LBB0_247
	s_branch .LBB0_248
.LBB0_246:                              ;   in Loop: Header=BB0_220 Depth=2
                                        ; implicit-def: $vgpr22_vgpr23
                                        ; implicit-def: $sgpr5
.LBB0_247:                              ;   in Loop: Header=BB0_220 Depth=2
	global_load_b64 v[22:23], v34, s[14:15]
	s_add_i32 s5, s1, -8
	s_add_u32 s14, s14, 8
	s_addc_u32 s15, s15, 0
.LBB0_248:                              ;   in Loop: Header=BB0_220 Depth=2
	s_cmp_gt_u32 s5, 7
	s_cbranch_scc1 .LBB0_253
; %bb.249:                              ;   in Loop: Header=BB0_220 Depth=2
	v_mov_b32_e32 v24, 0
	v_mov_b32_e32 v25, 0
	s_cmp_eq_u32 s5, 0
	s_cbranch_scc1 .LBB0_252
; %bb.250:                              ;   in Loop: Header=BB0_220 Depth=2
	s_mov_b64 s[16:17], 0
	s_mov_b64 s[18:19], 0
.LBB0_251:                              ;   Parent Loop BB0_38 Depth=1
                                        ;     Parent Loop BB0_220 Depth=2
                                        ; =>    This Inner Loop Header: Depth=3
	s_delay_alu instid0(SALU_CYCLE_1)
	s_add_u32 s24, s14, s18
	s_addc_u32 s25, s15, s19
	s_add_u32 s18, s18, 1
	global_load_u8 v7, v34, s[24:25]
	s_addc_u32 s19, s19, 0
	s_waitcnt vmcnt(0)
	v_and_b32_e32 v33, 0xffff, v7
	s_delay_alu instid0(VALU_DEP_1) | instskip(SKIP_3) | instid1(VALU_DEP_1)
	v_lshlrev_b64 v[26:27], s16, v[33:34]
	s_add_u32 s16, s16, 8
	s_addc_u32 s17, s17, 0
	s_cmp_lg_u32 s5, s18
	v_or_b32_e32 v24, v26, v24
	s_delay_alu instid0(VALU_DEP_2)
	v_or_b32_e32 v25, v27, v25
	s_cbranch_scc1 .LBB0_251
.LBB0_252:                              ;   in Loop: Header=BB0_220 Depth=2
	s_mov_b32 s1, 0
	s_cbranch_execz .LBB0_254
	s_branch .LBB0_255
.LBB0_253:                              ;   in Loop: Header=BB0_220 Depth=2
                                        ; implicit-def: $sgpr1
.LBB0_254:                              ;   in Loop: Header=BB0_220 Depth=2
	global_load_b64 v[24:25], v34, s[14:15]
	s_add_i32 s1, s5, -8
	s_add_u32 s14, s14, 8
	s_addc_u32 s15, s15, 0
.LBB0_255:                              ;   in Loop: Header=BB0_220 Depth=2
	s_cmp_gt_u32 s1, 7
	s_cbranch_scc1 .LBB0_260
; %bb.256:                              ;   in Loop: Header=BB0_220 Depth=2
	v_mov_b32_e32 v26, 0
	v_mov_b32_e32 v27, 0
	s_cmp_eq_u32 s1, 0
	s_cbranch_scc1 .LBB0_259
; %bb.257:                              ;   in Loop: Header=BB0_220 Depth=2
	s_mov_b64 s[16:17], 0
	s_mov_b64 s[18:19], 0
.LBB0_258:                              ;   Parent Loop BB0_38 Depth=1
                                        ;     Parent Loop BB0_220 Depth=2
                                        ; =>    This Inner Loop Header: Depth=3
	s_delay_alu instid0(SALU_CYCLE_1)
	s_add_u32 s24, s14, s18
	s_addc_u32 s25, s15, s19
	s_add_u32 s18, s18, 1
	global_load_u8 v7, v34, s[24:25]
	s_addc_u32 s19, s19, 0
	s_waitcnt vmcnt(0)
	v_and_b32_e32 v33, 0xffff, v7
	s_delay_alu instid0(VALU_DEP_1) | instskip(SKIP_3) | instid1(VALU_DEP_1)
	v_lshlrev_b64 v[28:29], s16, v[33:34]
	s_add_u32 s16, s16, 8
	s_addc_u32 s17, s17, 0
	s_cmp_lg_u32 s1, s18
	v_or_b32_e32 v26, v28, v26
	s_delay_alu instid0(VALU_DEP_2)
	v_or_b32_e32 v27, v29, v27
	s_cbranch_scc1 .LBB0_258
.LBB0_259:                              ;   in Loop: Header=BB0_220 Depth=2
	s_mov_b32 s5, 0
	s_cbranch_execz .LBB0_261
	s_branch .LBB0_262
.LBB0_260:                              ;   in Loop: Header=BB0_220 Depth=2
                                        ; implicit-def: $vgpr26_vgpr27
                                        ; implicit-def: $sgpr5
.LBB0_261:                              ;   in Loop: Header=BB0_220 Depth=2
	global_load_b64 v[26:27], v34, s[14:15]
	s_add_i32 s5, s1, -8
	s_add_u32 s14, s14, 8
	s_addc_u32 s15, s15, 0
.LBB0_262:                              ;   in Loop: Header=BB0_220 Depth=2
	s_cmp_gt_u32 s5, 7
	s_cbranch_scc1 .LBB0_267
; %bb.263:                              ;   in Loop: Header=BB0_220 Depth=2
	v_mov_b32_e32 v28, 0
	v_mov_b32_e32 v29, 0
	s_cmp_eq_u32 s5, 0
	s_cbranch_scc1 .LBB0_266
; %bb.264:                              ;   in Loop: Header=BB0_220 Depth=2
	s_mov_b64 s[16:17], 0
	s_mov_b64 s[18:19], s[14:15]
.LBB0_265:                              ;   Parent Loop BB0_38 Depth=1
                                        ;     Parent Loop BB0_220 Depth=2
                                        ; =>    This Inner Loop Header: Depth=3
	global_load_u8 v7, v34, s[18:19]
	s_add_i32 s5, s5, -1
	s_waitcnt vmcnt(0)
	v_and_b32_e32 v33, 0xffff, v7
	s_delay_alu instid0(VALU_DEP_1)
	v_lshlrev_b64 v[30:31], s16, v[33:34]
	s_add_u32 s16, s16, 8
	s_addc_u32 s17, s17, 0
	s_add_u32 s18, s18, 1
	s_addc_u32 s19, s19, 0
	s_cmp_lg_u32 s5, 0
	v_or_b32_e32 v28, v30, v28
	v_or_b32_e32 v29, v31, v29
	s_cbranch_scc1 .LBB0_265
.LBB0_266:                              ;   in Loop: Header=BB0_220 Depth=2
	s_cbranch_execz .LBB0_268
	s_branch .LBB0_269
.LBB0_267:                              ;   in Loop: Header=BB0_220 Depth=2
.LBB0_268:                              ;   in Loop: Header=BB0_220 Depth=2
	global_load_b64 v[28:29], v34, s[14:15]
.LBB0_269:                              ;   in Loop: Header=BB0_220 Depth=2
	v_readfirstlane_b32 s1, v37
	v_mov_b32_e32 v35, 0
	v_mov_b32_e32 v36, 0
	s_delay_alu instid0(VALU_DEP_3) | instskip(NEXT) | instid1(VALU_DEP_1)
	v_cmp_eq_u32_e64 s1, s1, v37
	s_and_saveexec_b32 s5, s1
	s_cbranch_execz .LBB0_275
; %bb.270:                              ;   in Loop: Header=BB0_220 Depth=2
	global_load_b64 v[32:33], v34, s[2:3] offset:24 glc
	s_waitcnt vmcnt(0)
	buffer_gl1_inv
	buffer_gl0_inv
	s_clause 0x1
	global_load_b64 v[30:31], v34, s[2:3] offset:40
	global_load_b64 v[35:36], v34, s[2:3]
	s_mov_b32 s14, exec_lo
	s_waitcnt vmcnt(1)
	v_and_b32_e32 v7, v31, v33
	v_and_b32_e32 v30, v30, v32
	s_delay_alu instid0(VALU_DEP_2) | instskip(NEXT) | instid1(VALU_DEP_2)
	v_mul_lo_u32 v7, v7, 24
	v_mul_hi_u32 v31, v30, 24
	v_mul_lo_u32 v30, v30, 24
	s_delay_alu instid0(VALU_DEP_2) | instskip(SKIP_1) | instid1(VALU_DEP_2)
	v_add_nc_u32_e32 v7, v31, v7
	s_waitcnt vmcnt(0)
	v_add_co_u32 v30, vcc_lo, v35, v30
	s_delay_alu instid0(VALU_DEP_2)
	v_add_co_ci_u32_e32 v31, vcc_lo, v36, v7, vcc_lo
	global_load_b64 v[30:31], v[30:31], off glc
	s_waitcnt vmcnt(0)
	global_atomic_cmpswap_b64 v[35:36], v34, v[30:33], s[2:3] offset:24 glc
	s_waitcnt vmcnt(0)
	buffer_gl1_inv
	buffer_gl0_inv
	v_cmpx_ne_u64_e64 v[35:36], v[32:33]
	s_cbranch_execz .LBB0_274
; %bb.271:                              ;   in Loop: Header=BB0_220 Depth=2
	s_mov_b32 s15, 0
	.p2align	6
.LBB0_272:                              ;   Parent Loop BB0_38 Depth=1
                                        ;     Parent Loop BB0_220 Depth=2
                                        ; =>    This Inner Loop Header: Depth=3
	s_sleep 1
	s_clause 0x1
	global_load_b64 v[30:31], v34, s[2:3] offset:40
	global_load_b64 v[50:51], v34, s[2:3]
	v_dual_mov_b32 v32, v35 :: v_dual_mov_b32 v33, v36
	s_waitcnt vmcnt(1)
	s_delay_alu instid0(VALU_DEP_1) | instskip(SKIP_1) | instid1(VALU_DEP_1)
	v_and_b32_e32 v7, v30, v32
	s_waitcnt vmcnt(0)
	v_mad_u64_u32 v[35:36], null, v7, 24, v[50:51]
	s_delay_alu instid0(VALU_DEP_1) | instskip(NEXT) | instid1(VALU_DEP_1)
	v_dual_mov_b32 v7, v36 :: v_dual_and_b32 v50, v31, v33
	v_mad_u64_u32 v[30:31], null, v50, 24, v[7:8]
	s_delay_alu instid0(VALU_DEP_1)
	v_mov_b32_e32 v36, v30
	global_load_b64 v[30:31], v[35:36], off glc
	s_waitcnt vmcnt(0)
	global_atomic_cmpswap_b64 v[35:36], v34, v[30:33], s[2:3] offset:24 glc
	s_waitcnt vmcnt(0)
	buffer_gl1_inv
	buffer_gl0_inv
	v_cmp_eq_u64_e32 vcc_lo, v[35:36], v[32:33]
	s_or_b32 s15, vcc_lo, s15
	s_delay_alu instid0(SALU_CYCLE_1)
	s_and_not1_b32 exec_lo, exec_lo, s15
	s_cbranch_execnz .LBB0_272
; %bb.273:                              ;   in Loop: Header=BB0_220 Depth=2
	s_or_b32 exec_lo, exec_lo, s15
.LBB0_274:                              ;   in Loop: Header=BB0_220 Depth=2
	s_delay_alu instid0(SALU_CYCLE_1)
	s_or_b32 exec_lo, exec_lo, s14
.LBB0_275:                              ;   in Loop: Header=BB0_220 Depth=2
	s_delay_alu instid0(SALU_CYCLE_1)
	s_or_b32 exec_lo, exec_lo, s5
	s_clause 0x1
	global_load_b64 v[50:51], v34, s[2:3] offset:40
	global_load_b128 v[30:33], v34, s[2:3]
	v_readfirstlane_b32 s14, v35
	v_readfirstlane_b32 s15, v36
	s_mov_b32 s5, exec_lo
	s_waitcnt vmcnt(1)
	v_readfirstlane_b32 s16, v50
	v_readfirstlane_b32 s17, v51
	s_delay_alu instid0(VALU_DEP_1) | instskip(NEXT) | instid1(SALU_CYCLE_1)
	s_and_b64 s[16:17], s[14:15], s[16:17]
	s_mul_i32 s18, s17, 24
	s_mul_hi_u32 s19, s16, 24
	s_mul_i32 s23, s16, 24
	s_add_i32 s19, s19, s18
	s_waitcnt vmcnt(0)
	v_add_co_u32 v35, vcc_lo, v30, s23
	v_add_co_ci_u32_e32 v36, vcc_lo, s19, v31, vcc_lo
	s_and_saveexec_b32 s18, s1
	s_cbranch_execz .LBB0_277
; %bb.276:                              ;   in Loop: Header=BB0_220 Depth=2
	v_mov_b32_e32 v7, s5
	global_store_b128 v[35:36], v[7:10], off offset:8
.LBB0_277:                              ;   in Loop: Header=BB0_220 Depth=2
	s_or_b32 exec_lo, exec_lo, s18
	s_lshl_b64 s[16:17], s[16:17], 12
	v_or_b32_e32 v7, 2, v14
	v_add_co_u32 v32, vcc_lo, v32, s16
	v_add_co_ci_u32_e32 v50, vcc_lo, s17, v33, vcc_lo
	v_cmp_gt_u64_e64 vcc_lo, s[10:11], 56
	s_lshl_b32 s5, s12, 2
	s_delay_alu instid0(VALU_DEP_3) | instskip(SKIP_4) | instid1(VALU_DEP_1)
	v_readfirstlane_b32 s16, v32
	s_add_i32 s5, s5, 28
	v_readfirstlane_b32 s17, v50
	s_and_b32 s5, s5, 0x1e0
	v_cndmask_b32_e32 v7, v7, v14, vcc_lo
	v_and_or_b32 v14, 0xffffff1f, v7, s5
	s_clause 0x3
	global_store_b128 v49, v[14:17], s[16:17]
	global_store_b128 v49, v[18:21], s[16:17] offset:16
	global_store_b128 v49, v[22:25], s[16:17] offset:32
	;; [unrolled: 1-line block ×3, first 2 shown]
	s_and_saveexec_b32 s5, s1
	s_cbranch_execz .LBB0_285
; %bb.278:                              ;   in Loop: Header=BB0_220 Depth=2
	s_clause 0x1
	global_load_b64 v[22:23], v34, s[2:3] offset:32 glc
	global_load_b64 v[14:15], v34, s[2:3] offset:40
	v_dual_mov_b32 v20, s14 :: v_dual_mov_b32 v21, s15
	s_waitcnt vmcnt(0)
	v_readfirstlane_b32 s16, v14
	v_readfirstlane_b32 s17, v15
	s_delay_alu instid0(VALU_DEP_1) | instskip(NEXT) | instid1(SALU_CYCLE_1)
	s_and_b64 s[16:17], s[16:17], s[14:15]
	s_mul_i32 s17, s17, 24
	s_mul_hi_u32 s18, s16, 24
	s_mul_i32 s16, s16, 24
	s_add_i32 s18, s18, s17
	v_add_co_u32 v18, vcc_lo, v30, s16
	v_add_co_ci_u32_e32 v19, vcc_lo, s18, v31, vcc_lo
	s_mov_b32 s16, exec_lo
	global_store_b64 v[18:19], v[22:23], off
	s_waitcnt_vscnt null, 0x0
	global_atomic_cmpswap_b64 v[16:17], v34, v[20:23], s[2:3] offset:32 glc
	s_waitcnt vmcnt(0)
	v_cmpx_ne_u64_e64 v[16:17], v[22:23]
	s_cbranch_execz .LBB0_281
; %bb.279:                              ;   in Loop: Header=BB0_220 Depth=2
	s_mov_b32 s17, 0
.LBB0_280:                              ;   Parent Loop BB0_38 Depth=1
                                        ;     Parent Loop BB0_220 Depth=2
                                        ; =>    This Inner Loop Header: Depth=3
	v_dual_mov_b32 v14, s14 :: v_dual_mov_b32 v15, s15
	s_sleep 1
	global_store_b64 v[18:19], v[16:17], off
	s_waitcnt_vscnt null, 0x0
	global_atomic_cmpswap_b64 v[14:15], v34, v[14:17], s[2:3] offset:32 glc
	s_waitcnt vmcnt(0)
	v_cmp_eq_u64_e32 vcc_lo, v[14:15], v[16:17]
	v_dual_mov_b32 v17, v15 :: v_dual_mov_b32 v16, v14
	s_or_b32 s17, vcc_lo, s17
	s_delay_alu instid0(SALU_CYCLE_1)
	s_and_not1_b32 exec_lo, exec_lo, s17
	s_cbranch_execnz .LBB0_280
.LBB0_281:                              ;   in Loop: Header=BB0_220 Depth=2
	s_or_b32 exec_lo, exec_lo, s16
	global_load_b64 v[14:15], v34, s[2:3] offset:16
	s_mov_b32 s17, exec_lo
	s_mov_b32 s16, exec_lo
	v_mbcnt_lo_u32_b32 v7, s17, 0
	s_delay_alu instid0(VALU_DEP_1)
	v_cmpx_eq_u32_e32 0, v7
	s_cbranch_execz .LBB0_283
; %bb.282:                              ;   in Loop: Header=BB0_220 Depth=2
	s_bcnt1_i32_b32 s17, s17
	s_delay_alu instid0(SALU_CYCLE_1)
	v_mov_b32_e32 v7, s17
	s_waitcnt vmcnt(0)
	global_atomic_add_u64 v[14:15], v[7:8], off offset:8
.LBB0_283:                              ;   in Loop: Header=BB0_220 Depth=2
	s_or_b32 exec_lo, exec_lo, s16
	s_waitcnt vmcnt(0)
	global_load_b64 v[16:17], v[14:15], off offset:16
	s_waitcnt vmcnt(0)
	v_cmp_eq_u64_e32 vcc_lo, 0, v[16:17]
	s_cbranch_vccnz .LBB0_285
; %bb.284:                              ;   in Loop: Header=BB0_220 Depth=2
	global_load_b32 v33, v[14:15], off offset:24
	s_waitcnt vmcnt(0)
	v_and_b32_e32 v7, 0xffffff, v33
	s_waitcnt_vscnt null, 0x0
	global_store_b64 v[16:17], v[33:34], off
	v_readfirstlane_b32 m0, v7
	s_sendmsg sendmsg(MSG_INTERRUPT)
.LBB0_285:                              ;   in Loop: Header=BB0_220 Depth=2
	s_or_b32 exec_lo, exec_lo, s5
	v_add_co_u32 v14, vcc_lo, v32, v49
	v_add_co_ci_u32_e32 v15, vcc_lo, 0, v50, vcc_lo
	s_branch .LBB0_289
	.p2align	6
.LBB0_286:                              ;   in Loop: Header=BB0_289 Depth=3
	s_or_b32 exec_lo, exec_lo, s5
	s_delay_alu instid0(VALU_DEP_1) | instskip(NEXT) | instid1(VALU_DEP_1)
	v_readfirstlane_b32 s5, v7
	s_cmp_eq_u32 s5, 0
	s_cbranch_scc1 .LBB0_288
; %bb.287:                              ;   in Loop: Header=BB0_289 Depth=3
	s_sleep 1
	s_cbranch_execnz .LBB0_289
	s_branch .LBB0_291
	.p2align	6
.LBB0_288:                              ;   in Loop: Header=BB0_220 Depth=2
	s_branch .LBB0_291
.LBB0_289:                              ;   Parent Loop BB0_38 Depth=1
                                        ;     Parent Loop BB0_220 Depth=2
                                        ; =>    This Inner Loop Header: Depth=3
	v_mov_b32_e32 v7, 1
	s_and_saveexec_b32 s5, s1
	s_cbranch_execz .LBB0_286
; %bb.290:                              ;   in Loop: Header=BB0_289 Depth=3
	global_load_b32 v7, v[35:36], off offset:20 glc
	s_waitcnt vmcnt(0)
	buffer_gl1_inv
	buffer_gl0_inv
	v_and_b32_e32 v7, 1, v7
	s_branch .LBB0_286
.LBB0_291:                              ;   in Loop: Header=BB0_220 Depth=2
	global_load_b128 v[14:17], v[14:15], off
	s_and_saveexec_b32 s5, s1
	s_cbranch_execz .LBB0_219
; %bb.292:                              ;   in Loop: Header=BB0_220 Depth=2
	s_clause 0x2
	global_load_b64 v[18:19], v34, s[2:3] offset:40
	global_load_b64 v[22:23], v34, s[2:3] offset:24 glc
	global_load_b64 v[20:21], v34, s[2:3]
	s_waitcnt vmcnt(2)
	v_add_co_u32 v7, vcc_lo, v18, 1
	v_add_co_ci_u32_e32 v24, vcc_lo, 0, v19, vcc_lo
	s_delay_alu instid0(VALU_DEP_2) | instskip(NEXT) | instid1(VALU_DEP_2)
	v_add_co_u32 v16, vcc_lo, v7, s14
	v_add_co_ci_u32_e32 v17, vcc_lo, s15, v24, vcc_lo
	s_delay_alu instid0(VALU_DEP_1) | instskip(SKIP_1) | instid1(VALU_DEP_1)
	v_cmp_eq_u64_e32 vcc_lo, 0, v[16:17]
	v_dual_cndmask_b32 v17, v17, v24 :: v_dual_cndmask_b32 v16, v16, v7
	v_and_b32_e32 v7, v17, v19
	s_delay_alu instid0(VALU_DEP_2) | instskip(NEXT) | instid1(VALU_DEP_1)
	v_and_b32_e32 v18, v16, v18
	v_mul_hi_u32 v19, v18, 24
	v_mul_lo_u32 v18, v18, 24
	s_waitcnt vmcnt(0)
	s_delay_alu instid0(VALU_DEP_1) | instskip(SKIP_2) | instid1(VALU_DEP_1)
	v_add_co_u32 v20, vcc_lo, v20, v18
	v_mov_b32_e32 v18, v22
	v_mul_lo_u32 v7, v7, 24
	v_add_nc_u32_e32 v7, v19, v7
	v_mov_b32_e32 v19, v23
	s_delay_alu instid0(VALU_DEP_2)
	v_add_co_ci_u32_e32 v21, vcc_lo, v21, v7, vcc_lo
	global_store_b64 v[20:21], v[22:23], off
	s_waitcnt_vscnt null, 0x0
	global_atomic_cmpswap_b64 v[18:19], v34, v[16:19], s[2:3] offset:24 glc
	s_waitcnt vmcnt(0)
	v_cmp_ne_u64_e32 vcc_lo, v[18:19], v[22:23]
	s_and_b32 exec_lo, exec_lo, vcc_lo
	s_cbranch_execz .LBB0_219
; %bb.293:                              ;   in Loop: Header=BB0_220 Depth=2
	s_mov_b32 s1, 0
.LBB0_294:                              ;   Parent Loop BB0_38 Depth=1
                                        ;     Parent Loop BB0_220 Depth=2
                                        ; =>    This Inner Loop Header: Depth=3
	s_sleep 1
	global_store_b64 v[20:21], v[18:19], off
	s_waitcnt_vscnt null, 0x0
	global_atomic_cmpswap_b64 v[22:23], v34, v[16:19], s[2:3] offset:24 glc
	s_waitcnt vmcnt(0)
	v_cmp_eq_u64_e32 vcc_lo, v[22:23], v[18:19]
	v_dual_mov_b32 v18, v22 :: v_dual_mov_b32 v19, v23
	s_or_b32 s1, vcc_lo, s1
	s_delay_alu instid0(SALU_CYCLE_1)
	s_and_not1_b32 exec_lo, exec_lo, s1
	s_cbranch_execnz .LBB0_294
	s_branch .LBB0_219
.LBB0_295:                              ;   in Loop: Header=BB0_38 Depth=1
	s_branch .LBB0_324
.LBB0_296:                              ;   in Loop: Header=BB0_38 Depth=1
	s_cbranch_execz .LBB0_324
; %bb.297:                              ;   in Loop: Header=BB0_38 Depth=1
	v_readfirstlane_b32 s1, v37
	s_waitcnt vmcnt(0)
	v_mov_b32_e32 v14, 0
	v_mov_b32_e32 v15, 0
	s_delay_alu instid0(VALU_DEP_3) | instskip(NEXT) | instid1(VALU_DEP_1)
	v_cmp_eq_u32_e64 s1, s1, v37
	s_and_saveexec_b32 s5, s1
	s_cbranch_execz .LBB0_303
; %bb.298:                              ;   in Loop: Header=BB0_38 Depth=1
	global_load_b64 v[16:17], v34, s[2:3] offset:24 glc
	s_waitcnt vmcnt(0)
	buffer_gl1_inv
	buffer_gl0_inv
	s_clause 0x1
	global_load_b64 v[14:15], v34, s[2:3] offset:40
	global_load_b64 v[18:19], v34, s[2:3]
	s_mov_b32 s6, exec_lo
	s_waitcnt vmcnt(1)
	v_and_b32_e32 v7, v15, v17
	v_and_b32_e32 v14, v14, v16
	s_delay_alu instid0(VALU_DEP_2) | instskip(NEXT) | instid1(VALU_DEP_2)
	v_mul_lo_u32 v7, v7, 24
	v_mul_hi_u32 v15, v14, 24
	v_mul_lo_u32 v14, v14, 24
	s_delay_alu instid0(VALU_DEP_2) | instskip(SKIP_1) | instid1(VALU_DEP_2)
	v_add_nc_u32_e32 v7, v15, v7
	s_waitcnt vmcnt(0)
	v_add_co_u32 v14, vcc_lo, v18, v14
	s_delay_alu instid0(VALU_DEP_2)
	v_add_co_ci_u32_e32 v15, vcc_lo, v19, v7, vcc_lo
	global_load_b64 v[14:15], v[14:15], off glc
	s_waitcnt vmcnt(0)
	global_atomic_cmpswap_b64 v[14:15], v34, v[14:17], s[2:3] offset:24 glc
	s_waitcnt vmcnt(0)
	buffer_gl1_inv
	buffer_gl0_inv
	v_cmpx_ne_u64_e64 v[14:15], v[16:17]
	s_cbranch_execz .LBB0_302
; %bb.299:                              ;   in Loop: Header=BB0_38 Depth=1
	s_mov_b32 s7, 0
	.p2align	6
.LBB0_300:                              ;   Parent Loop BB0_38 Depth=1
                                        ; =>  This Inner Loop Header: Depth=2
	s_sleep 1
	s_clause 0x1
	global_load_b64 v[18:19], v34, s[2:3] offset:40
	global_load_b64 v[20:21], v34, s[2:3]
	v_dual_mov_b32 v17, v15 :: v_dual_mov_b32 v16, v14
	s_waitcnt vmcnt(1)
	s_delay_alu instid0(VALU_DEP_1) | instskip(SKIP_1) | instid1(VALU_DEP_1)
	v_and_b32_e32 v7, v18, v16
	s_waitcnt vmcnt(0)
	v_mad_u64_u32 v[14:15], null, v7, 24, v[20:21]
	v_and_b32_e32 v20, v19, v17
	s_delay_alu instid0(VALU_DEP_2) | instskip(NEXT) | instid1(VALU_DEP_1)
	v_mov_b32_e32 v7, v15
	v_mad_u64_u32 v[18:19], null, v20, 24, v[7:8]
	s_delay_alu instid0(VALU_DEP_1)
	v_mov_b32_e32 v15, v18
	global_load_b64 v[14:15], v[14:15], off glc
	s_waitcnt vmcnt(0)
	global_atomic_cmpswap_b64 v[14:15], v34, v[14:17], s[2:3] offset:24 glc
	s_waitcnt vmcnt(0)
	buffer_gl1_inv
	buffer_gl0_inv
	v_cmp_eq_u64_e32 vcc_lo, v[14:15], v[16:17]
	s_or_b32 s7, vcc_lo, s7
	s_delay_alu instid0(SALU_CYCLE_1)
	s_and_not1_b32 exec_lo, exec_lo, s7
	s_cbranch_execnz .LBB0_300
; %bb.301:                              ;   in Loop: Header=BB0_38 Depth=1
	s_or_b32 exec_lo, exec_lo, s7
.LBB0_302:                              ;   in Loop: Header=BB0_38 Depth=1
	s_delay_alu instid0(SALU_CYCLE_1)
	s_or_b32 exec_lo, exec_lo, s6
.LBB0_303:                              ;   in Loop: Header=BB0_38 Depth=1
	s_delay_alu instid0(SALU_CYCLE_1)
	s_or_b32 exec_lo, exec_lo, s5
	s_clause 0x1
	global_load_b64 v[20:21], v34, s[2:3] offset:40
	global_load_b128 v[16:19], v34, s[2:3]
	v_readfirstlane_b32 s10, v14
	v_readfirstlane_b32 s11, v15
	s_mov_b32 s5, exec_lo
	s_waitcnt vmcnt(1)
	v_readfirstlane_b32 s6, v20
	v_readfirstlane_b32 s7, v21
	s_delay_alu instid0(VALU_DEP_1) | instskip(NEXT) | instid1(SALU_CYCLE_1)
	s_and_b64 s[6:7], s[10:11], s[6:7]
	s_mul_i32 s12, s7, 24
	s_mul_hi_u32 s13, s6, 24
	s_mul_i32 s14, s6, 24
	s_add_i32 s13, s13, s12
	s_waitcnt vmcnt(0)
	v_add_co_u32 v20, vcc_lo, v16, s14
	v_add_co_ci_u32_e32 v21, vcc_lo, s13, v17, vcc_lo
	s_and_saveexec_b32 s12, s1
	s_cbranch_execz .LBB0_305
; %bb.304:                              ;   in Loop: Header=BB0_38 Depth=1
	v_mov_b32_e32 v7, s5
	global_store_b128 v[20:21], v[7:10], off offset:8
.LBB0_305:                              ;   in Loop: Header=BB0_38 Depth=1
	s_or_b32 exec_lo, exec_lo, s12
	s_lshl_b64 s[6:7], s[6:7], 12
	s_mov_b32 s5, s4
	v_add_co_u32 v7, vcc_lo, v18, s6
	v_add_co_ci_u32_e32 v18, vcc_lo, s7, v19, vcc_lo
	s_mov_b32 s7, s4
	s_mov_b32 s6, s4
	v_and_or_b32 v12, 0xffffff1d, v12, 34
	v_dual_mov_b32 v14, v8 :: v_dual_mov_b32 v25, s7
	v_dual_mov_b32 v15, v8 :: v_dual_mov_b32 v24, s6
	v_readfirstlane_b32 s12, v7
	v_readfirstlane_b32 s13, v18
	v_dual_mov_b32 v23, s5 :: v_dual_mov_b32 v22, s4
	s_clause 0x3
	global_store_b128 v49, v[12:15], s[12:13]
	global_store_b128 v49, v[22:25], s[12:13] offset:16
	global_store_b128 v49, v[22:25], s[12:13] offset:32
	;; [unrolled: 1-line block ×3, first 2 shown]
	s_and_saveexec_b32 s5, s1
	s_cbranch_execz .LBB0_313
; %bb.306:                              ;   in Loop: Header=BB0_38 Depth=1
	s_clause 0x1
	global_load_b64 v[24:25], v34, s[2:3] offset:32 glc
	global_load_b64 v[12:13], v34, s[2:3] offset:40
	v_dual_mov_b32 v22, s10 :: v_dual_mov_b32 v23, s11
	s_waitcnt vmcnt(0)
	v_readfirstlane_b32 s6, v12
	v_readfirstlane_b32 s7, v13
	s_delay_alu instid0(VALU_DEP_1) | instskip(NEXT) | instid1(SALU_CYCLE_1)
	s_and_b64 s[6:7], s[6:7], s[10:11]
	s_mul_i32 s7, s7, 24
	s_mul_hi_u32 s12, s6, 24
	s_mul_i32 s6, s6, 24
	s_add_i32 s12, s12, s7
	v_add_co_u32 v16, vcc_lo, v16, s6
	v_add_co_ci_u32_e32 v17, vcc_lo, s12, v17, vcc_lo
	s_mov_b32 s6, exec_lo
	global_store_b64 v[16:17], v[24:25], off
	s_waitcnt_vscnt null, 0x0
	global_atomic_cmpswap_b64 v[14:15], v34, v[22:25], s[2:3] offset:32 glc
	s_waitcnt vmcnt(0)
	v_cmpx_ne_u64_e64 v[14:15], v[24:25]
	s_cbranch_execz .LBB0_309
; %bb.307:                              ;   in Loop: Header=BB0_38 Depth=1
	s_mov_b32 s7, 0
.LBB0_308:                              ;   Parent Loop BB0_38 Depth=1
                                        ; =>  This Inner Loop Header: Depth=2
	v_dual_mov_b32 v12, s10 :: v_dual_mov_b32 v13, s11
	s_sleep 1
	global_store_b64 v[16:17], v[14:15], off
	s_waitcnt_vscnt null, 0x0
	global_atomic_cmpswap_b64 v[12:13], v34, v[12:15], s[2:3] offset:32 glc
	s_waitcnt vmcnt(0)
	v_cmp_eq_u64_e32 vcc_lo, v[12:13], v[14:15]
	v_dual_mov_b32 v15, v13 :: v_dual_mov_b32 v14, v12
	s_or_b32 s7, vcc_lo, s7
	s_delay_alu instid0(SALU_CYCLE_1)
	s_and_not1_b32 exec_lo, exec_lo, s7
	s_cbranch_execnz .LBB0_308
.LBB0_309:                              ;   in Loop: Header=BB0_38 Depth=1
	s_or_b32 exec_lo, exec_lo, s6
	global_load_b64 v[12:13], v34, s[2:3] offset:16
	s_mov_b32 s7, exec_lo
	s_mov_b32 s6, exec_lo
	v_mbcnt_lo_u32_b32 v7, s7, 0
	s_delay_alu instid0(VALU_DEP_1)
	v_cmpx_eq_u32_e32 0, v7
	s_cbranch_execz .LBB0_311
; %bb.310:                              ;   in Loop: Header=BB0_38 Depth=1
	s_bcnt1_i32_b32 s7, s7
	s_delay_alu instid0(SALU_CYCLE_1)
	v_mov_b32_e32 v7, s7
	s_waitcnt vmcnt(0)
	global_atomic_add_u64 v[12:13], v[7:8], off offset:8
.LBB0_311:                              ;   in Loop: Header=BB0_38 Depth=1
	s_or_b32 exec_lo, exec_lo, s6
	s_waitcnt vmcnt(0)
	global_load_b64 v[14:15], v[12:13], off offset:16
	s_waitcnt vmcnt(0)
	v_cmp_eq_u64_e32 vcc_lo, 0, v[14:15]
	s_cbranch_vccnz .LBB0_313
; %bb.312:                              ;   in Loop: Header=BB0_38 Depth=1
	global_load_b32 v33, v[12:13], off offset:24
	s_waitcnt vmcnt(0)
	v_and_b32_e32 v7, 0xffffff, v33
	s_waitcnt_vscnt null, 0x0
	global_store_b64 v[14:15], v[33:34], off
	v_readfirstlane_b32 m0, v7
	s_sendmsg sendmsg(MSG_INTERRUPT)
.LBB0_313:                              ;   in Loop: Header=BB0_38 Depth=1
	s_or_b32 exec_lo, exec_lo, s5
	s_branch .LBB0_317
	.p2align	6
.LBB0_314:                              ;   in Loop: Header=BB0_317 Depth=2
	s_or_b32 exec_lo, exec_lo, s5
	s_delay_alu instid0(VALU_DEP_1) | instskip(NEXT) | instid1(VALU_DEP_1)
	v_readfirstlane_b32 s5, v7
	s_cmp_eq_u32 s5, 0
	s_cbranch_scc1 .LBB0_316
; %bb.315:                              ;   in Loop: Header=BB0_317 Depth=2
	s_sleep 1
	s_cbranch_execnz .LBB0_317
	s_branch .LBB0_319
	.p2align	6
.LBB0_316:                              ;   in Loop: Header=BB0_38 Depth=1
	s_branch .LBB0_319
.LBB0_317:                              ;   Parent Loop BB0_38 Depth=1
                                        ; =>  This Inner Loop Header: Depth=2
	v_mov_b32_e32 v7, 1
	s_and_saveexec_b32 s5, s1
	s_cbranch_execz .LBB0_314
; %bb.318:                              ;   in Loop: Header=BB0_317 Depth=2
	global_load_b32 v7, v[20:21], off offset:20 glc
	s_waitcnt vmcnt(0)
	buffer_gl1_inv
	buffer_gl0_inv
	v_and_b32_e32 v7, 1, v7
	s_branch .LBB0_314
.LBB0_319:                              ;   in Loop: Header=BB0_38 Depth=1
	s_and_saveexec_b32 s5, s1
	s_cbranch_execz .LBB0_323
; %bb.320:                              ;   in Loop: Header=BB0_38 Depth=1
	s_clause 0x2
	global_load_b64 v[14:15], v34, s[2:3] offset:40
	global_load_b64 v[18:19], v34, s[2:3] offset:24 glc
	global_load_b64 v[16:17], v34, s[2:3]
	s_waitcnt vmcnt(2)
	v_add_co_u32 v7, vcc_lo, v14, 1
	v_add_co_ci_u32_e32 v20, vcc_lo, 0, v15, vcc_lo
	s_delay_alu instid0(VALU_DEP_2) | instskip(NEXT) | instid1(VALU_DEP_2)
	v_add_co_u32 v12, vcc_lo, v7, s10
	v_add_co_ci_u32_e32 v13, vcc_lo, s11, v20, vcc_lo
	s_delay_alu instid0(VALU_DEP_1) | instskip(SKIP_1) | instid1(VALU_DEP_1)
	v_cmp_eq_u64_e32 vcc_lo, 0, v[12:13]
	v_dual_cndmask_b32 v13, v13, v20 :: v_dual_cndmask_b32 v12, v12, v7
	v_and_b32_e32 v7, v13, v15
	s_delay_alu instid0(VALU_DEP_2) | instskip(NEXT) | instid1(VALU_DEP_1)
	v_and_b32_e32 v14, v12, v14
	v_mul_hi_u32 v15, v14, 24
	v_mul_lo_u32 v14, v14, 24
	s_waitcnt vmcnt(0)
	s_delay_alu instid0(VALU_DEP_1) | instskip(SKIP_2) | instid1(VALU_DEP_1)
	v_add_co_u32 v16, vcc_lo, v16, v14
	v_mov_b32_e32 v14, v18
	v_mul_lo_u32 v7, v7, 24
	v_add_nc_u32_e32 v7, v15, v7
	v_mov_b32_e32 v15, v19
	s_delay_alu instid0(VALU_DEP_2)
	v_add_co_ci_u32_e32 v17, vcc_lo, v17, v7, vcc_lo
	global_store_b64 v[16:17], v[18:19], off
	s_waitcnt_vscnt null, 0x0
	global_atomic_cmpswap_b64 v[14:15], v34, v[12:15], s[2:3] offset:24 glc
	s_waitcnt vmcnt(0)
	v_cmp_ne_u64_e32 vcc_lo, v[14:15], v[18:19]
	s_and_b32 exec_lo, exec_lo, vcc_lo
	s_cbranch_execz .LBB0_323
; %bb.321:                              ;   in Loop: Header=BB0_38 Depth=1
	s_mov_b32 s1, 0
.LBB0_322:                              ;   Parent Loop BB0_38 Depth=1
                                        ; =>  This Inner Loop Header: Depth=2
	s_sleep 1
	global_store_b64 v[16:17], v[14:15], off
	s_waitcnt_vscnt null, 0x0
	global_atomic_cmpswap_b64 v[18:19], v34, v[12:15], s[2:3] offset:24 glc
	s_waitcnt vmcnt(0)
	v_cmp_eq_u64_e32 vcc_lo, v[18:19], v[14:15]
	v_dual_mov_b32 v14, v18 :: v_dual_mov_b32 v15, v19
	s_or_b32 s1, vcc_lo, s1
	s_delay_alu instid0(SALU_CYCLE_1)
	s_and_not1_b32 exec_lo, exec_lo, s1
	s_cbranch_execnz .LBB0_322
.LBB0_323:                              ;   in Loop: Header=BB0_38 Depth=1
	s_or_b32 exec_lo, exec_lo, s5
.LBB0_324:                              ;   in Loop: Header=BB0_38 Depth=1
	v_readfirstlane_b32 s1, v37
	s_waitcnt vmcnt(0)
	v_mov_b32_e32 v12, 0
	v_mov_b32_e32 v13, 0
	s_delay_alu instid0(VALU_DEP_3) | instskip(NEXT) | instid1(VALU_DEP_1)
	v_cmp_eq_u32_e64 s1, s1, v37
	s_and_saveexec_b32 s5, s1
	s_cbranch_execz .LBB0_330
; %bb.325:                              ;   in Loop: Header=BB0_38 Depth=1
	global_load_b64 v[14:15], v34, s[2:3] offset:24 glc
	s_waitcnt vmcnt(0)
	buffer_gl1_inv
	buffer_gl0_inv
	s_clause 0x1
	global_load_b64 v[12:13], v34, s[2:3] offset:40
	global_load_b64 v[16:17], v34, s[2:3]
	s_mov_b32 s6, exec_lo
	s_waitcnt vmcnt(1)
	v_and_b32_e32 v7, v13, v15
	v_and_b32_e32 v12, v12, v14
	s_delay_alu instid0(VALU_DEP_2) | instskip(NEXT) | instid1(VALU_DEP_2)
	v_mul_lo_u32 v7, v7, 24
	v_mul_hi_u32 v13, v12, 24
	v_mul_lo_u32 v12, v12, 24
	s_delay_alu instid0(VALU_DEP_2) | instskip(SKIP_1) | instid1(VALU_DEP_2)
	v_add_nc_u32_e32 v7, v13, v7
	s_waitcnt vmcnt(0)
	v_add_co_u32 v12, vcc_lo, v16, v12
	s_delay_alu instid0(VALU_DEP_2)
	v_add_co_ci_u32_e32 v13, vcc_lo, v17, v7, vcc_lo
	global_load_b64 v[12:13], v[12:13], off glc
	s_waitcnt vmcnt(0)
	global_atomic_cmpswap_b64 v[12:13], v34, v[12:15], s[2:3] offset:24 glc
	s_waitcnt vmcnt(0)
	buffer_gl1_inv
	buffer_gl0_inv
	v_cmpx_ne_u64_e64 v[12:13], v[14:15]
	s_cbranch_execz .LBB0_329
; %bb.326:                              ;   in Loop: Header=BB0_38 Depth=1
	s_mov_b32 s7, 0
	.p2align	6
.LBB0_327:                              ;   Parent Loop BB0_38 Depth=1
                                        ; =>  This Inner Loop Header: Depth=2
	s_sleep 1
	s_clause 0x1
	global_load_b64 v[16:17], v34, s[2:3] offset:40
	global_load_b64 v[18:19], v34, s[2:3]
	v_dual_mov_b32 v15, v13 :: v_dual_mov_b32 v14, v12
	s_waitcnt vmcnt(1)
	s_delay_alu instid0(VALU_DEP_1) | instskip(SKIP_1) | instid1(VALU_DEP_1)
	v_and_b32_e32 v7, v16, v14
	s_waitcnt vmcnt(0)
	v_mad_u64_u32 v[12:13], null, v7, 24, v[18:19]
	v_and_b32_e32 v18, v17, v15
	s_delay_alu instid0(VALU_DEP_2) | instskip(NEXT) | instid1(VALU_DEP_1)
	v_mov_b32_e32 v7, v13
	v_mad_u64_u32 v[16:17], null, v18, 24, v[7:8]
	s_delay_alu instid0(VALU_DEP_1)
	v_mov_b32_e32 v13, v16
	global_load_b64 v[12:13], v[12:13], off glc
	s_waitcnt vmcnt(0)
	global_atomic_cmpswap_b64 v[12:13], v34, v[12:15], s[2:3] offset:24 glc
	s_waitcnt vmcnt(0)
	buffer_gl1_inv
	buffer_gl0_inv
	v_cmp_eq_u64_e32 vcc_lo, v[12:13], v[14:15]
	s_or_b32 s7, vcc_lo, s7
	s_delay_alu instid0(SALU_CYCLE_1)
	s_and_not1_b32 exec_lo, exec_lo, s7
	s_cbranch_execnz .LBB0_327
; %bb.328:                              ;   in Loop: Header=BB0_38 Depth=1
	s_or_b32 exec_lo, exec_lo, s7
.LBB0_329:                              ;   in Loop: Header=BB0_38 Depth=1
	s_delay_alu instid0(SALU_CYCLE_1)
	s_or_b32 exec_lo, exec_lo, s6
.LBB0_330:                              ;   in Loop: Header=BB0_38 Depth=1
	s_delay_alu instid0(SALU_CYCLE_1)
	s_or_b32 exec_lo, exec_lo, s5
	s_clause 0x1
	global_load_b64 v[19:20], v34, s[2:3] offset:40
	global_load_b128 v[15:18], v34, s[2:3]
	v_readfirstlane_b32 s10, v12
	v_readfirstlane_b32 s11, v13
	s_mov_b32 s5, exec_lo
	s_waitcnt vmcnt(1)
	v_readfirstlane_b32 s6, v19
	v_readfirstlane_b32 s7, v20
	s_delay_alu instid0(VALU_DEP_1) | instskip(NEXT) | instid1(SALU_CYCLE_1)
	s_and_b64 s[6:7], s[10:11], s[6:7]
	s_mul_i32 s12, s7, 24
	s_mul_hi_u32 s13, s6, 24
	s_mul_i32 s14, s6, 24
	s_add_i32 s13, s13, s12
	s_waitcnt vmcnt(0)
	v_add_co_u32 v19, vcc_lo, v15, s14
	v_add_co_ci_u32_e32 v20, vcc_lo, s13, v16, vcc_lo
	s_and_saveexec_b32 s12, s1
	s_cbranch_execz .LBB0_332
; %bb.331:                              ;   in Loop: Header=BB0_38 Depth=1
	v_mov_b32_e32 v7, s5
	global_store_b128 v[19:20], v[7:10], off offset:8
.LBB0_332:                              ;   in Loop: Header=BB0_38 Depth=1
	s_or_b32 exec_lo, exec_lo, s12
	s_lshl_b64 s[6:7], s[6:7], 12
	s_mov_b32 s5, s4
	v_add_co_u32 v21, vcc_lo, v17, s6
	v_add_co_ci_u32_e32 v22, vcc_lo, s7, v18, vcc_lo
	s_mov_b32 s7, s4
	s_mov_b32 s6, s4
	v_mov_b32_e32 v12, v8
	v_dual_mov_b32 v13, v8 :: v_dual_mov_b32 v26, s7
	v_dual_mov_b32 v14, v8 :: v_dual_mov_b32 v23, s4
	v_readfirstlane_b32 s12, v21
	v_readfirstlane_b32 s13, v22
	v_dual_mov_b32 v25, s6 :: v_dual_mov_b32 v24, s5
	s_clause 0x3
	global_store_b128 v49, v[11:14], s[12:13]
	global_store_b128 v49, v[23:26], s[12:13] offset:16
	global_store_b128 v49, v[23:26], s[12:13] offset:32
	;; [unrolled: 1-line block ×3, first 2 shown]
	s_and_saveexec_b32 s5, s1
	s_cbranch_execz .LBB0_340
; %bb.333:                              ;   in Loop: Header=BB0_38 Depth=1
	s_clause 0x1
	global_load_b64 v[25:26], v34, s[2:3] offset:32 glc
	global_load_b64 v[12:13], v34, s[2:3] offset:40
	v_dual_mov_b32 v23, s10 :: v_dual_mov_b32 v24, s11
	s_waitcnt vmcnt(0)
	v_readfirstlane_b32 s6, v12
	v_readfirstlane_b32 s7, v13
	s_delay_alu instid0(VALU_DEP_1) | instskip(NEXT) | instid1(SALU_CYCLE_1)
	s_and_b64 s[6:7], s[6:7], s[10:11]
	s_mul_i32 s7, s7, 24
	s_mul_hi_u32 s12, s6, 24
	s_mul_i32 s6, s6, 24
	s_add_i32 s12, s12, s7
	v_add_co_u32 v17, vcc_lo, v15, s6
	v_add_co_ci_u32_e32 v18, vcc_lo, s12, v16, vcc_lo
	s_mov_b32 s6, exec_lo
	global_store_b64 v[17:18], v[25:26], off
	s_waitcnt_vscnt null, 0x0
	global_atomic_cmpswap_b64 v[14:15], v34, v[23:26], s[2:3] offset:32 glc
	s_waitcnt vmcnt(0)
	v_cmpx_ne_u64_e64 v[14:15], v[25:26]
	s_cbranch_execz .LBB0_336
; %bb.334:                              ;   in Loop: Header=BB0_38 Depth=1
	s_mov_b32 s7, 0
.LBB0_335:                              ;   Parent Loop BB0_38 Depth=1
                                        ; =>  This Inner Loop Header: Depth=2
	v_dual_mov_b32 v12, s10 :: v_dual_mov_b32 v13, s11
	s_sleep 1
	global_store_b64 v[17:18], v[14:15], off
	s_waitcnt_vscnt null, 0x0
	global_atomic_cmpswap_b64 v[12:13], v34, v[12:15], s[2:3] offset:32 glc
	s_waitcnt vmcnt(0)
	v_cmp_eq_u64_e32 vcc_lo, v[12:13], v[14:15]
	v_dual_mov_b32 v15, v13 :: v_dual_mov_b32 v14, v12
	s_or_b32 s7, vcc_lo, s7
	s_delay_alu instid0(SALU_CYCLE_1)
	s_and_not1_b32 exec_lo, exec_lo, s7
	s_cbranch_execnz .LBB0_335
.LBB0_336:                              ;   in Loop: Header=BB0_38 Depth=1
	s_or_b32 exec_lo, exec_lo, s6
	global_load_b64 v[12:13], v34, s[2:3] offset:16
	s_mov_b32 s7, exec_lo
	s_mov_b32 s6, exec_lo
	v_mbcnt_lo_u32_b32 v7, s7, 0
	s_delay_alu instid0(VALU_DEP_1)
	v_cmpx_eq_u32_e32 0, v7
	s_cbranch_execz .LBB0_338
; %bb.337:                              ;   in Loop: Header=BB0_38 Depth=1
	s_bcnt1_i32_b32 s7, s7
	s_delay_alu instid0(SALU_CYCLE_1)
	v_mov_b32_e32 v7, s7
	s_waitcnt vmcnt(0)
	global_atomic_add_u64 v[12:13], v[7:8], off offset:8
.LBB0_338:                              ;   in Loop: Header=BB0_38 Depth=1
	s_or_b32 exec_lo, exec_lo, s6
	s_waitcnt vmcnt(0)
	global_load_b64 v[14:15], v[12:13], off offset:16
	s_waitcnt vmcnt(0)
	v_cmp_eq_u64_e32 vcc_lo, 0, v[14:15]
	s_cbranch_vccnz .LBB0_340
; %bb.339:                              ;   in Loop: Header=BB0_38 Depth=1
	global_load_b32 v33, v[12:13], off offset:24
	s_waitcnt vmcnt(0)
	v_and_b32_e32 v7, 0xffffff, v33
	s_waitcnt_vscnt null, 0x0
	global_store_b64 v[14:15], v[33:34], off
	v_readfirstlane_b32 m0, v7
	s_sendmsg sendmsg(MSG_INTERRUPT)
.LBB0_340:                              ;   in Loop: Header=BB0_38 Depth=1
	s_or_b32 exec_lo, exec_lo, s5
	v_add_co_u32 v12, vcc_lo, v21, v49
	v_add_co_ci_u32_e32 v13, vcc_lo, 0, v22, vcc_lo
	s_branch .LBB0_344
	.p2align	6
.LBB0_341:                              ;   in Loop: Header=BB0_344 Depth=2
	s_or_b32 exec_lo, exec_lo, s5
	s_delay_alu instid0(VALU_DEP_1) | instskip(NEXT) | instid1(VALU_DEP_1)
	v_readfirstlane_b32 s5, v7
	s_cmp_eq_u32 s5, 0
	s_cbranch_scc1 .LBB0_343
; %bb.342:                              ;   in Loop: Header=BB0_344 Depth=2
	s_sleep 1
	s_cbranch_execnz .LBB0_344
	s_branch .LBB0_346
	.p2align	6
.LBB0_343:                              ;   in Loop: Header=BB0_38 Depth=1
	s_branch .LBB0_346
.LBB0_344:                              ;   Parent Loop BB0_38 Depth=1
                                        ; =>  This Inner Loop Header: Depth=2
	v_mov_b32_e32 v7, 1
	s_and_saveexec_b32 s5, s1
	s_cbranch_execz .LBB0_341
; %bb.345:                              ;   in Loop: Header=BB0_344 Depth=2
	global_load_b32 v7, v[19:20], off offset:20 glc
	s_waitcnt vmcnt(0)
	buffer_gl1_inv
	buffer_gl0_inv
	v_and_b32_e32 v7, 1, v7
	s_branch .LBB0_341
.LBB0_346:                              ;   in Loop: Header=BB0_38 Depth=1
	global_load_b64 v[12:13], v[12:13], off
	s_and_saveexec_b32 s5, s1
	s_cbranch_execz .LBB0_350
; %bb.347:                              ;   in Loop: Header=BB0_38 Depth=1
	s_clause 0x2
	global_load_b64 v[16:17], v34, s[2:3] offset:40
	global_load_b64 v[20:21], v34, s[2:3] offset:24 glc
	global_load_b64 v[18:19], v34, s[2:3]
	s_waitcnt vmcnt(2)
	v_add_co_u32 v7, vcc_lo, v16, 1
	v_add_co_ci_u32_e32 v22, vcc_lo, 0, v17, vcc_lo
	s_delay_alu instid0(VALU_DEP_2) | instskip(NEXT) | instid1(VALU_DEP_2)
	v_add_co_u32 v14, vcc_lo, v7, s10
	v_add_co_ci_u32_e32 v15, vcc_lo, s11, v22, vcc_lo
	s_delay_alu instid0(VALU_DEP_1) | instskip(SKIP_1) | instid1(VALU_DEP_1)
	v_cmp_eq_u64_e32 vcc_lo, 0, v[14:15]
	v_dual_cndmask_b32 v15, v15, v22 :: v_dual_cndmask_b32 v14, v14, v7
	v_and_b32_e32 v7, v15, v17
	s_delay_alu instid0(VALU_DEP_2) | instskip(NEXT) | instid1(VALU_DEP_1)
	v_and_b32_e32 v16, v14, v16
	v_mul_hi_u32 v17, v16, 24
	v_mul_lo_u32 v16, v16, 24
	s_waitcnt vmcnt(0)
	s_delay_alu instid0(VALU_DEP_1) | instskip(SKIP_2) | instid1(VALU_DEP_1)
	v_add_co_u32 v18, vcc_lo, v18, v16
	v_mov_b32_e32 v16, v20
	v_mul_lo_u32 v7, v7, 24
	v_add_nc_u32_e32 v7, v17, v7
	v_mov_b32_e32 v17, v21
	s_delay_alu instid0(VALU_DEP_2)
	v_add_co_ci_u32_e32 v19, vcc_lo, v19, v7, vcc_lo
	global_store_b64 v[18:19], v[20:21], off
	s_waitcnt_vscnt null, 0x0
	global_atomic_cmpswap_b64 v[16:17], v34, v[14:17], s[2:3] offset:24 glc
	s_waitcnt vmcnt(0)
	v_cmp_ne_u64_e32 vcc_lo, v[16:17], v[20:21]
	s_and_b32 exec_lo, exec_lo, vcc_lo
	s_cbranch_execz .LBB0_350
; %bb.348:                              ;   in Loop: Header=BB0_38 Depth=1
	s_mov_b32 s1, 0
.LBB0_349:                              ;   Parent Loop BB0_38 Depth=1
                                        ; =>  This Inner Loop Header: Depth=2
	s_sleep 1
	global_store_b64 v[18:19], v[16:17], off
	s_waitcnt_vscnt null, 0x0
	global_atomic_cmpswap_b64 v[20:21], v34, v[14:17], s[2:3] offset:24 glc
	s_waitcnt vmcnt(0)
	v_cmp_eq_u64_e32 vcc_lo, v[20:21], v[16:17]
	v_dual_mov_b32 v16, v20 :: v_dual_mov_b32 v17, v21
	s_or_b32 s1, vcc_lo, s1
	s_delay_alu instid0(SALU_CYCLE_1)
	s_and_not1_b32 exec_lo, exec_lo, s1
	s_cbranch_execnz .LBB0_349
.LBB0_350:                              ;   in Loop: Header=BB0_38 Depth=1
	s_or_b32 exec_lo, exec_lo, s5
	s_delay_alu instid0(SALU_CYCLE_1)
	s_and_b32 vcc_lo, exec_lo, s20
	s_cbranch_vccz .LBB0_429
; %bb.351:                              ;   in Loop: Header=BB0_38 Depth=1
	s_waitcnt vmcnt(0)
	v_dual_mov_b32 v15, v13 :: v_dual_and_b32 v14, -3, v12
	s_mov_b64 s[10:11], 39
	s_getpc_b64 s[6:7]
	s_add_u32 s6, s6, .str.2@rel32@lo+4
	s_addc_u32 s7, s7, .str.2@rel32@hi+12
	s_branch .LBB0_353
.LBB0_352:                              ;   in Loop: Header=BB0_353 Depth=2
	s_or_b32 exec_lo, exec_lo, s5
	s_sub_u32 s10, s10, s12
	s_subb_u32 s11, s11, s13
	s_add_u32 s6, s6, s12
	s_addc_u32 s7, s7, s13
	s_cmp_eq_u64 s[10:11], 0
	s_cbranch_scc1 .LBB0_428
.LBB0_353:                              ;   Parent Loop BB0_38 Depth=1
                                        ; =>  This Loop Header: Depth=2
                                        ;       Child Loop BB0_356 Depth 3
                                        ;       Child Loop BB0_363 Depth 3
	;; [unrolled: 1-line block ×11, first 2 shown]
	v_cmp_lt_u64_e64 s1, s[10:11], 56
	v_cmp_gt_u64_e64 s5, s[10:11], 7
	s_delay_alu instid0(VALU_DEP_2) | instskip(SKIP_2) | instid1(VALU_DEP_1)
	s_and_b32 s1, s1, exec_lo
	s_cselect_b32 s13, s11, 0
	s_cselect_b32 s12, s10, 56
	s_and_b32 vcc_lo, exec_lo, s5
	s_cbranch_vccnz .LBB0_358
; %bb.354:                              ;   in Loop: Header=BB0_353 Depth=2
	s_waitcnt vmcnt(0)
	v_mov_b32_e32 v16, 0
	v_mov_b32_e32 v17, 0
	s_cmp_eq_u64 s[10:11], 0
	s_mov_b64 s[14:15], 0
	s_cbranch_scc1 .LBB0_357
; %bb.355:                              ;   in Loop: Header=BB0_353 Depth=2
	v_mov_b32_e32 v16, 0
	v_mov_b32_e32 v17, 0
	s_lshl_b64 s[16:17], s[12:13], 3
	s_mov_b64 s[18:19], s[6:7]
.LBB0_356:                              ;   Parent Loop BB0_38 Depth=1
                                        ;     Parent Loop BB0_353 Depth=2
                                        ; =>    This Inner Loop Header: Depth=3
	global_load_u8 v7, v34, s[18:19]
	s_waitcnt vmcnt(0)
	v_and_b32_e32 v33, 0xffff, v7
	s_delay_alu instid0(VALU_DEP_1)
	v_lshlrev_b64 v[18:19], s14, v[33:34]
	s_add_u32 s14, s14, 8
	s_addc_u32 s15, s15, 0
	s_add_u32 s18, s18, 1
	s_addc_u32 s19, s19, 0
	s_cmp_lg_u32 s16, s14
	v_or_b32_e32 v16, v18, v16
	v_or_b32_e32 v17, v19, v17
	s_cbranch_scc1 .LBB0_356
.LBB0_357:                              ;   in Loop: Header=BB0_353 Depth=2
	s_mov_b32 s1, 0
	s_mov_b64 s[14:15], s[6:7]
	s_cbranch_execz .LBB0_359
	s_branch .LBB0_360
.LBB0_358:                              ;   in Loop: Header=BB0_353 Depth=2
                                        ; implicit-def: $sgpr1
	s_mov_b64 s[14:15], s[6:7]
.LBB0_359:                              ;   in Loop: Header=BB0_353 Depth=2
	global_load_b64 v[16:17], v34, s[6:7]
	s_add_i32 s1, s12, -8
	s_add_u32 s14, s6, 8
	s_addc_u32 s15, s7, 0
.LBB0_360:                              ;   in Loop: Header=BB0_353 Depth=2
	s_cmp_gt_u32 s1, 7
	s_cbranch_scc1 .LBB0_365
; %bb.361:                              ;   in Loop: Header=BB0_353 Depth=2
	v_mov_b32_e32 v18, 0
	v_mov_b32_e32 v19, 0
	s_cmp_eq_u32 s1, 0
	s_cbranch_scc1 .LBB0_364
; %bb.362:                              ;   in Loop: Header=BB0_353 Depth=2
	s_mov_b64 s[16:17], 0
	s_mov_b64 s[18:19], 0
.LBB0_363:                              ;   Parent Loop BB0_38 Depth=1
                                        ;     Parent Loop BB0_353 Depth=2
                                        ; =>    This Inner Loop Header: Depth=3
	s_delay_alu instid0(SALU_CYCLE_1)
	s_add_u32 s24, s14, s18
	s_addc_u32 s25, s15, s19
	s_add_u32 s18, s18, 1
	global_load_u8 v7, v34, s[24:25]
	s_addc_u32 s19, s19, 0
	s_waitcnt vmcnt(0)
	v_and_b32_e32 v33, 0xffff, v7
	s_delay_alu instid0(VALU_DEP_1) | instskip(SKIP_3) | instid1(VALU_DEP_1)
	v_lshlrev_b64 v[20:21], s16, v[33:34]
	s_add_u32 s16, s16, 8
	s_addc_u32 s17, s17, 0
	s_cmp_lg_u32 s1, s18
	v_or_b32_e32 v18, v20, v18
	s_delay_alu instid0(VALU_DEP_2)
	v_or_b32_e32 v19, v21, v19
	s_cbranch_scc1 .LBB0_363
.LBB0_364:                              ;   in Loop: Header=BB0_353 Depth=2
	s_mov_b32 s5, 0
	s_cbranch_execz .LBB0_366
	s_branch .LBB0_367
.LBB0_365:                              ;   in Loop: Header=BB0_353 Depth=2
                                        ; implicit-def: $vgpr18_vgpr19
                                        ; implicit-def: $sgpr5
.LBB0_366:                              ;   in Loop: Header=BB0_353 Depth=2
	global_load_b64 v[18:19], v34, s[14:15]
	s_add_i32 s5, s1, -8
	s_add_u32 s14, s14, 8
	s_addc_u32 s15, s15, 0
.LBB0_367:                              ;   in Loop: Header=BB0_353 Depth=2
	s_cmp_gt_u32 s5, 7
	s_cbranch_scc1 .LBB0_372
; %bb.368:                              ;   in Loop: Header=BB0_353 Depth=2
	v_mov_b32_e32 v20, 0
	v_mov_b32_e32 v21, 0
	s_cmp_eq_u32 s5, 0
	s_cbranch_scc1 .LBB0_371
; %bb.369:                              ;   in Loop: Header=BB0_353 Depth=2
	s_mov_b64 s[16:17], 0
	s_mov_b64 s[18:19], 0
.LBB0_370:                              ;   Parent Loop BB0_38 Depth=1
                                        ;     Parent Loop BB0_353 Depth=2
                                        ; =>    This Inner Loop Header: Depth=3
	s_delay_alu instid0(SALU_CYCLE_1)
	s_add_u32 s24, s14, s18
	s_addc_u32 s25, s15, s19
	s_add_u32 s18, s18, 1
	global_load_u8 v7, v34, s[24:25]
	s_addc_u32 s19, s19, 0
	s_waitcnt vmcnt(0)
	v_and_b32_e32 v33, 0xffff, v7
	s_delay_alu instid0(VALU_DEP_1) | instskip(SKIP_3) | instid1(VALU_DEP_1)
	v_lshlrev_b64 v[22:23], s16, v[33:34]
	s_add_u32 s16, s16, 8
	s_addc_u32 s17, s17, 0
	s_cmp_lg_u32 s5, s18
	v_or_b32_e32 v20, v22, v20
	s_delay_alu instid0(VALU_DEP_2)
	v_or_b32_e32 v21, v23, v21
	s_cbranch_scc1 .LBB0_370
.LBB0_371:                              ;   in Loop: Header=BB0_353 Depth=2
	s_mov_b32 s1, 0
	s_cbranch_execz .LBB0_373
	s_branch .LBB0_374
.LBB0_372:                              ;   in Loop: Header=BB0_353 Depth=2
                                        ; implicit-def: $sgpr1
.LBB0_373:                              ;   in Loop: Header=BB0_353 Depth=2
	global_load_b64 v[20:21], v34, s[14:15]
	s_add_i32 s1, s5, -8
	s_add_u32 s14, s14, 8
	s_addc_u32 s15, s15, 0
.LBB0_374:                              ;   in Loop: Header=BB0_353 Depth=2
	s_cmp_gt_u32 s1, 7
	s_cbranch_scc1 .LBB0_379
; %bb.375:                              ;   in Loop: Header=BB0_353 Depth=2
	v_mov_b32_e32 v22, 0
	v_mov_b32_e32 v23, 0
	s_cmp_eq_u32 s1, 0
	s_cbranch_scc1 .LBB0_378
; %bb.376:                              ;   in Loop: Header=BB0_353 Depth=2
	s_mov_b64 s[16:17], 0
	s_mov_b64 s[18:19], 0
.LBB0_377:                              ;   Parent Loop BB0_38 Depth=1
                                        ;     Parent Loop BB0_353 Depth=2
                                        ; =>    This Inner Loop Header: Depth=3
	s_delay_alu instid0(SALU_CYCLE_1)
	s_add_u32 s24, s14, s18
	s_addc_u32 s25, s15, s19
	s_add_u32 s18, s18, 1
	global_load_u8 v7, v34, s[24:25]
	s_addc_u32 s19, s19, 0
	s_waitcnt vmcnt(0)
	v_and_b32_e32 v33, 0xffff, v7
	s_delay_alu instid0(VALU_DEP_1) | instskip(SKIP_3) | instid1(VALU_DEP_1)
	v_lshlrev_b64 v[24:25], s16, v[33:34]
	s_add_u32 s16, s16, 8
	s_addc_u32 s17, s17, 0
	s_cmp_lg_u32 s1, s18
	v_or_b32_e32 v22, v24, v22
	s_delay_alu instid0(VALU_DEP_2)
	v_or_b32_e32 v23, v25, v23
	s_cbranch_scc1 .LBB0_377
.LBB0_378:                              ;   in Loop: Header=BB0_353 Depth=2
	s_mov_b32 s5, 0
	s_cbranch_execz .LBB0_380
	s_branch .LBB0_381
.LBB0_379:                              ;   in Loop: Header=BB0_353 Depth=2
                                        ; implicit-def: $vgpr22_vgpr23
                                        ; implicit-def: $sgpr5
.LBB0_380:                              ;   in Loop: Header=BB0_353 Depth=2
	global_load_b64 v[22:23], v34, s[14:15]
	s_add_i32 s5, s1, -8
	s_add_u32 s14, s14, 8
	s_addc_u32 s15, s15, 0
.LBB0_381:                              ;   in Loop: Header=BB0_353 Depth=2
	s_cmp_gt_u32 s5, 7
	s_cbranch_scc1 .LBB0_386
; %bb.382:                              ;   in Loop: Header=BB0_353 Depth=2
	v_mov_b32_e32 v24, 0
	v_mov_b32_e32 v25, 0
	s_cmp_eq_u32 s5, 0
	s_cbranch_scc1 .LBB0_385
; %bb.383:                              ;   in Loop: Header=BB0_353 Depth=2
	s_mov_b64 s[16:17], 0
	s_mov_b64 s[18:19], 0
.LBB0_384:                              ;   Parent Loop BB0_38 Depth=1
                                        ;     Parent Loop BB0_353 Depth=2
                                        ; =>    This Inner Loop Header: Depth=3
	s_delay_alu instid0(SALU_CYCLE_1)
	s_add_u32 s24, s14, s18
	s_addc_u32 s25, s15, s19
	s_add_u32 s18, s18, 1
	global_load_u8 v7, v34, s[24:25]
	s_addc_u32 s19, s19, 0
	s_waitcnt vmcnt(0)
	v_and_b32_e32 v33, 0xffff, v7
	s_delay_alu instid0(VALU_DEP_1) | instskip(SKIP_3) | instid1(VALU_DEP_1)
	v_lshlrev_b64 v[26:27], s16, v[33:34]
	s_add_u32 s16, s16, 8
	s_addc_u32 s17, s17, 0
	s_cmp_lg_u32 s5, s18
	v_or_b32_e32 v24, v26, v24
	s_delay_alu instid0(VALU_DEP_2)
	v_or_b32_e32 v25, v27, v25
	s_cbranch_scc1 .LBB0_384
.LBB0_385:                              ;   in Loop: Header=BB0_353 Depth=2
	s_mov_b32 s1, 0
	s_cbranch_execz .LBB0_387
	s_branch .LBB0_388
.LBB0_386:                              ;   in Loop: Header=BB0_353 Depth=2
                                        ; implicit-def: $sgpr1
.LBB0_387:                              ;   in Loop: Header=BB0_353 Depth=2
	global_load_b64 v[24:25], v34, s[14:15]
	s_add_i32 s1, s5, -8
	s_add_u32 s14, s14, 8
	s_addc_u32 s15, s15, 0
.LBB0_388:                              ;   in Loop: Header=BB0_353 Depth=2
	s_cmp_gt_u32 s1, 7
	s_cbranch_scc1 .LBB0_393
; %bb.389:                              ;   in Loop: Header=BB0_353 Depth=2
	v_mov_b32_e32 v26, 0
	v_mov_b32_e32 v27, 0
	s_cmp_eq_u32 s1, 0
	s_cbranch_scc1 .LBB0_392
; %bb.390:                              ;   in Loop: Header=BB0_353 Depth=2
	s_mov_b64 s[16:17], 0
	s_mov_b64 s[18:19], 0
.LBB0_391:                              ;   Parent Loop BB0_38 Depth=1
                                        ;     Parent Loop BB0_353 Depth=2
                                        ; =>    This Inner Loop Header: Depth=3
	s_delay_alu instid0(SALU_CYCLE_1)
	s_add_u32 s24, s14, s18
	s_addc_u32 s25, s15, s19
	s_add_u32 s18, s18, 1
	global_load_u8 v7, v34, s[24:25]
	s_addc_u32 s19, s19, 0
	s_waitcnt vmcnt(0)
	v_and_b32_e32 v33, 0xffff, v7
	s_delay_alu instid0(VALU_DEP_1) | instskip(SKIP_3) | instid1(VALU_DEP_1)
	v_lshlrev_b64 v[28:29], s16, v[33:34]
	s_add_u32 s16, s16, 8
	s_addc_u32 s17, s17, 0
	s_cmp_lg_u32 s1, s18
	v_or_b32_e32 v26, v28, v26
	s_delay_alu instid0(VALU_DEP_2)
	v_or_b32_e32 v27, v29, v27
	s_cbranch_scc1 .LBB0_391
.LBB0_392:                              ;   in Loop: Header=BB0_353 Depth=2
	s_mov_b32 s5, 0
	s_cbranch_execz .LBB0_394
	s_branch .LBB0_395
.LBB0_393:                              ;   in Loop: Header=BB0_353 Depth=2
                                        ; implicit-def: $vgpr26_vgpr27
                                        ; implicit-def: $sgpr5
.LBB0_394:                              ;   in Loop: Header=BB0_353 Depth=2
	global_load_b64 v[26:27], v34, s[14:15]
	s_add_i32 s5, s1, -8
	s_add_u32 s14, s14, 8
	s_addc_u32 s15, s15, 0
.LBB0_395:                              ;   in Loop: Header=BB0_353 Depth=2
	s_cmp_gt_u32 s5, 7
	s_cbranch_scc1 .LBB0_400
; %bb.396:                              ;   in Loop: Header=BB0_353 Depth=2
	v_mov_b32_e32 v28, 0
	v_mov_b32_e32 v29, 0
	s_cmp_eq_u32 s5, 0
	s_cbranch_scc1 .LBB0_399
; %bb.397:                              ;   in Loop: Header=BB0_353 Depth=2
	s_mov_b64 s[16:17], 0
	s_mov_b64 s[18:19], s[14:15]
.LBB0_398:                              ;   Parent Loop BB0_38 Depth=1
                                        ;     Parent Loop BB0_353 Depth=2
                                        ; =>    This Inner Loop Header: Depth=3
	global_load_u8 v7, v34, s[18:19]
	s_add_i32 s5, s5, -1
	s_waitcnt vmcnt(0)
	v_and_b32_e32 v33, 0xffff, v7
	s_delay_alu instid0(VALU_DEP_1)
	v_lshlrev_b64 v[30:31], s16, v[33:34]
	s_add_u32 s16, s16, 8
	s_addc_u32 s17, s17, 0
	s_add_u32 s18, s18, 1
	s_addc_u32 s19, s19, 0
	s_cmp_lg_u32 s5, 0
	v_or_b32_e32 v28, v30, v28
	v_or_b32_e32 v29, v31, v29
	s_cbranch_scc1 .LBB0_398
.LBB0_399:                              ;   in Loop: Header=BB0_353 Depth=2
	s_cbranch_execz .LBB0_401
	s_branch .LBB0_402
.LBB0_400:                              ;   in Loop: Header=BB0_353 Depth=2
.LBB0_401:                              ;   in Loop: Header=BB0_353 Depth=2
	global_load_b64 v[28:29], v34, s[14:15]
.LBB0_402:                              ;   in Loop: Header=BB0_353 Depth=2
	v_readfirstlane_b32 s1, v37
	v_mov_b32_e32 v35, 0
	v_mov_b32_e32 v36, 0
	s_delay_alu instid0(VALU_DEP_3) | instskip(NEXT) | instid1(VALU_DEP_1)
	v_cmp_eq_u32_e64 s1, s1, v37
	s_and_saveexec_b32 s5, s1
	s_cbranch_execz .LBB0_408
; %bb.403:                              ;   in Loop: Header=BB0_353 Depth=2
	global_load_b64 v[32:33], v34, s[2:3] offset:24 glc
	s_waitcnt vmcnt(0)
	buffer_gl1_inv
	buffer_gl0_inv
	s_clause 0x1
	global_load_b64 v[30:31], v34, s[2:3] offset:40
	global_load_b64 v[35:36], v34, s[2:3]
	s_mov_b32 s14, exec_lo
	s_waitcnt vmcnt(1)
	v_and_b32_e32 v7, v31, v33
	v_and_b32_e32 v30, v30, v32
	s_delay_alu instid0(VALU_DEP_2) | instskip(NEXT) | instid1(VALU_DEP_2)
	v_mul_lo_u32 v7, v7, 24
	v_mul_hi_u32 v31, v30, 24
	v_mul_lo_u32 v30, v30, 24
	s_delay_alu instid0(VALU_DEP_2) | instskip(SKIP_1) | instid1(VALU_DEP_2)
	v_add_nc_u32_e32 v7, v31, v7
	s_waitcnt vmcnt(0)
	v_add_co_u32 v30, vcc_lo, v35, v30
	s_delay_alu instid0(VALU_DEP_2)
	v_add_co_ci_u32_e32 v31, vcc_lo, v36, v7, vcc_lo
	global_load_b64 v[30:31], v[30:31], off glc
	s_waitcnt vmcnt(0)
	global_atomic_cmpswap_b64 v[35:36], v34, v[30:33], s[2:3] offset:24 glc
	s_waitcnt vmcnt(0)
	buffer_gl1_inv
	buffer_gl0_inv
	v_cmpx_ne_u64_e64 v[35:36], v[32:33]
	s_cbranch_execz .LBB0_407
; %bb.404:                              ;   in Loop: Header=BB0_353 Depth=2
	s_mov_b32 s15, 0
	.p2align	6
.LBB0_405:                              ;   Parent Loop BB0_38 Depth=1
                                        ;     Parent Loop BB0_353 Depth=2
                                        ; =>    This Inner Loop Header: Depth=3
	s_sleep 1
	s_clause 0x1
	global_load_b64 v[30:31], v34, s[2:3] offset:40
	global_load_b64 v[50:51], v34, s[2:3]
	v_dual_mov_b32 v32, v35 :: v_dual_mov_b32 v33, v36
	s_waitcnt vmcnt(1)
	s_delay_alu instid0(VALU_DEP_1) | instskip(SKIP_1) | instid1(VALU_DEP_1)
	v_and_b32_e32 v7, v30, v32
	s_waitcnt vmcnt(0)
	v_mad_u64_u32 v[35:36], null, v7, 24, v[50:51]
	s_delay_alu instid0(VALU_DEP_1) | instskip(NEXT) | instid1(VALU_DEP_1)
	v_dual_mov_b32 v7, v36 :: v_dual_and_b32 v50, v31, v33
	v_mad_u64_u32 v[30:31], null, v50, 24, v[7:8]
	s_delay_alu instid0(VALU_DEP_1)
	v_mov_b32_e32 v36, v30
	global_load_b64 v[30:31], v[35:36], off glc
	s_waitcnt vmcnt(0)
	global_atomic_cmpswap_b64 v[35:36], v34, v[30:33], s[2:3] offset:24 glc
	s_waitcnt vmcnt(0)
	buffer_gl1_inv
	buffer_gl0_inv
	v_cmp_eq_u64_e32 vcc_lo, v[35:36], v[32:33]
	s_or_b32 s15, vcc_lo, s15
	s_delay_alu instid0(SALU_CYCLE_1)
	s_and_not1_b32 exec_lo, exec_lo, s15
	s_cbranch_execnz .LBB0_405
; %bb.406:                              ;   in Loop: Header=BB0_353 Depth=2
	s_or_b32 exec_lo, exec_lo, s15
.LBB0_407:                              ;   in Loop: Header=BB0_353 Depth=2
	s_delay_alu instid0(SALU_CYCLE_1)
	s_or_b32 exec_lo, exec_lo, s14
.LBB0_408:                              ;   in Loop: Header=BB0_353 Depth=2
	s_delay_alu instid0(SALU_CYCLE_1)
	s_or_b32 exec_lo, exec_lo, s5
	s_clause 0x1
	global_load_b64 v[50:51], v34, s[2:3] offset:40
	global_load_b128 v[30:33], v34, s[2:3]
	v_readfirstlane_b32 s14, v35
	v_readfirstlane_b32 s15, v36
	s_mov_b32 s5, exec_lo
	s_waitcnt vmcnt(1)
	v_readfirstlane_b32 s16, v50
	v_readfirstlane_b32 s17, v51
	s_delay_alu instid0(VALU_DEP_1) | instskip(NEXT) | instid1(SALU_CYCLE_1)
	s_and_b64 s[16:17], s[14:15], s[16:17]
	s_mul_i32 s18, s17, 24
	s_mul_hi_u32 s19, s16, 24
	s_mul_i32 s23, s16, 24
	s_add_i32 s19, s19, s18
	s_waitcnt vmcnt(0)
	v_add_co_u32 v35, vcc_lo, v30, s23
	v_add_co_ci_u32_e32 v36, vcc_lo, s19, v31, vcc_lo
	s_and_saveexec_b32 s18, s1
	s_cbranch_execz .LBB0_410
; %bb.409:                              ;   in Loop: Header=BB0_353 Depth=2
	v_mov_b32_e32 v7, s5
	global_store_b128 v[35:36], v[7:10], off offset:8
.LBB0_410:                              ;   in Loop: Header=BB0_353 Depth=2
	s_or_b32 exec_lo, exec_lo, s18
	s_lshl_b64 s[16:17], s[16:17], 12
	v_or_b32_e32 v7, 2, v14
	v_add_co_u32 v32, vcc_lo, v32, s16
	v_add_co_ci_u32_e32 v50, vcc_lo, s17, v33, vcc_lo
	v_cmp_gt_u64_e64 vcc_lo, s[10:11], 56
	s_lshl_b32 s5, s12, 2
	s_delay_alu instid0(VALU_DEP_3) | instskip(SKIP_4) | instid1(VALU_DEP_1)
	v_readfirstlane_b32 s16, v32
	s_add_i32 s5, s5, 28
	v_readfirstlane_b32 s17, v50
	s_and_b32 s5, s5, 0x1e0
	v_cndmask_b32_e32 v7, v7, v14, vcc_lo
	v_and_or_b32 v14, 0xffffff1f, v7, s5
	s_clause 0x3
	global_store_b128 v49, v[14:17], s[16:17]
	global_store_b128 v49, v[18:21], s[16:17] offset:16
	global_store_b128 v49, v[22:25], s[16:17] offset:32
	global_store_b128 v49, v[26:29], s[16:17] offset:48
	s_and_saveexec_b32 s5, s1
	s_cbranch_execz .LBB0_418
; %bb.411:                              ;   in Loop: Header=BB0_353 Depth=2
	s_clause 0x1
	global_load_b64 v[22:23], v34, s[2:3] offset:32 glc
	global_load_b64 v[14:15], v34, s[2:3] offset:40
	v_dual_mov_b32 v20, s14 :: v_dual_mov_b32 v21, s15
	s_waitcnt vmcnt(0)
	v_readfirstlane_b32 s16, v14
	v_readfirstlane_b32 s17, v15
	s_delay_alu instid0(VALU_DEP_1) | instskip(NEXT) | instid1(SALU_CYCLE_1)
	s_and_b64 s[16:17], s[16:17], s[14:15]
	s_mul_i32 s17, s17, 24
	s_mul_hi_u32 s18, s16, 24
	s_mul_i32 s16, s16, 24
	s_add_i32 s18, s18, s17
	v_add_co_u32 v18, vcc_lo, v30, s16
	v_add_co_ci_u32_e32 v19, vcc_lo, s18, v31, vcc_lo
	s_mov_b32 s16, exec_lo
	global_store_b64 v[18:19], v[22:23], off
	s_waitcnt_vscnt null, 0x0
	global_atomic_cmpswap_b64 v[16:17], v34, v[20:23], s[2:3] offset:32 glc
	s_waitcnt vmcnt(0)
	v_cmpx_ne_u64_e64 v[16:17], v[22:23]
	s_cbranch_execz .LBB0_414
; %bb.412:                              ;   in Loop: Header=BB0_353 Depth=2
	s_mov_b32 s17, 0
.LBB0_413:                              ;   Parent Loop BB0_38 Depth=1
                                        ;     Parent Loop BB0_353 Depth=2
                                        ; =>    This Inner Loop Header: Depth=3
	v_dual_mov_b32 v14, s14 :: v_dual_mov_b32 v15, s15
	s_sleep 1
	global_store_b64 v[18:19], v[16:17], off
	s_waitcnt_vscnt null, 0x0
	global_atomic_cmpswap_b64 v[14:15], v34, v[14:17], s[2:3] offset:32 glc
	s_waitcnt vmcnt(0)
	v_cmp_eq_u64_e32 vcc_lo, v[14:15], v[16:17]
	v_dual_mov_b32 v17, v15 :: v_dual_mov_b32 v16, v14
	s_or_b32 s17, vcc_lo, s17
	s_delay_alu instid0(SALU_CYCLE_1)
	s_and_not1_b32 exec_lo, exec_lo, s17
	s_cbranch_execnz .LBB0_413
.LBB0_414:                              ;   in Loop: Header=BB0_353 Depth=2
	s_or_b32 exec_lo, exec_lo, s16
	global_load_b64 v[14:15], v34, s[2:3] offset:16
	s_mov_b32 s17, exec_lo
	s_mov_b32 s16, exec_lo
	v_mbcnt_lo_u32_b32 v7, s17, 0
	s_delay_alu instid0(VALU_DEP_1)
	v_cmpx_eq_u32_e32 0, v7
	s_cbranch_execz .LBB0_416
; %bb.415:                              ;   in Loop: Header=BB0_353 Depth=2
	s_bcnt1_i32_b32 s17, s17
	s_delay_alu instid0(SALU_CYCLE_1)
	v_mov_b32_e32 v7, s17
	s_waitcnt vmcnt(0)
	global_atomic_add_u64 v[14:15], v[7:8], off offset:8
.LBB0_416:                              ;   in Loop: Header=BB0_353 Depth=2
	s_or_b32 exec_lo, exec_lo, s16
	s_waitcnt vmcnt(0)
	global_load_b64 v[16:17], v[14:15], off offset:16
	s_waitcnt vmcnt(0)
	v_cmp_eq_u64_e32 vcc_lo, 0, v[16:17]
	s_cbranch_vccnz .LBB0_418
; %bb.417:                              ;   in Loop: Header=BB0_353 Depth=2
	global_load_b32 v33, v[14:15], off offset:24
	s_waitcnt vmcnt(0)
	v_and_b32_e32 v7, 0xffffff, v33
	s_waitcnt_vscnt null, 0x0
	global_store_b64 v[16:17], v[33:34], off
	v_readfirstlane_b32 m0, v7
	s_sendmsg sendmsg(MSG_INTERRUPT)
.LBB0_418:                              ;   in Loop: Header=BB0_353 Depth=2
	s_or_b32 exec_lo, exec_lo, s5
	v_add_co_u32 v14, vcc_lo, v32, v49
	v_add_co_ci_u32_e32 v15, vcc_lo, 0, v50, vcc_lo
	s_branch .LBB0_422
	.p2align	6
.LBB0_419:                              ;   in Loop: Header=BB0_422 Depth=3
	s_or_b32 exec_lo, exec_lo, s5
	s_delay_alu instid0(VALU_DEP_1) | instskip(NEXT) | instid1(VALU_DEP_1)
	v_readfirstlane_b32 s5, v7
	s_cmp_eq_u32 s5, 0
	s_cbranch_scc1 .LBB0_421
; %bb.420:                              ;   in Loop: Header=BB0_422 Depth=3
	s_sleep 1
	s_cbranch_execnz .LBB0_422
	s_branch .LBB0_424
	.p2align	6
.LBB0_421:                              ;   in Loop: Header=BB0_353 Depth=2
	s_branch .LBB0_424
.LBB0_422:                              ;   Parent Loop BB0_38 Depth=1
                                        ;     Parent Loop BB0_353 Depth=2
                                        ; =>    This Inner Loop Header: Depth=3
	v_mov_b32_e32 v7, 1
	s_and_saveexec_b32 s5, s1
	s_cbranch_execz .LBB0_419
; %bb.423:                              ;   in Loop: Header=BB0_422 Depth=3
	global_load_b32 v7, v[35:36], off offset:20 glc
	s_waitcnt vmcnt(0)
	buffer_gl1_inv
	buffer_gl0_inv
	v_and_b32_e32 v7, 1, v7
	s_branch .LBB0_419
.LBB0_424:                              ;   in Loop: Header=BB0_353 Depth=2
	global_load_b128 v[14:17], v[14:15], off
	s_and_saveexec_b32 s5, s1
	s_cbranch_execz .LBB0_352
; %bb.425:                              ;   in Loop: Header=BB0_353 Depth=2
	s_clause 0x2
	global_load_b64 v[18:19], v34, s[2:3] offset:40
	global_load_b64 v[22:23], v34, s[2:3] offset:24 glc
	global_load_b64 v[20:21], v34, s[2:3]
	s_waitcnt vmcnt(2)
	v_add_co_u32 v7, vcc_lo, v18, 1
	v_add_co_ci_u32_e32 v24, vcc_lo, 0, v19, vcc_lo
	s_delay_alu instid0(VALU_DEP_2) | instskip(NEXT) | instid1(VALU_DEP_2)
	v_add_co_u32 v16, vcc_lo, v7, s14
	v_add_co_ci_u32_e32 v17, vcc_lo, s15, v24, vcc_lo
	s_delay_alu instid0(VALU_DEP_1) | instskip(SKIP_1) | instid1(VALU_DEP_1)
	v_cmp_eq_u64_e32 vcc_lo, 0, v[16:17]
	v_dual_cndmask_b32 v17, v17, v24 :: v_dual_cndmask_b32 v16, v16, v7
	v_and_b32_e32 v7, v17, v19
	s_delay_alu instid0(VALU_DEP_2) | instskip(NEXT) | instid1(VALU_DEP_1)
	v_and_b32_e32 v18, v16, v18
	v_mul_hi_u32 v19, v18, 24
	v_mul_lo_u32 v18, v18, 24
	s_waitcnt vmcnt(0)
	s_delay_alu instid0(VALU_DEP_1) | instskip(SKIP_2) | instid1(VALU_DEP_1)
	v_add_co_u32 v20, vcc_lo, v20, v18
	v_mov_b32_e32 v18, v22
	v_mul_lo_u32 v7, v7, 24
	v_add_nc_u32_e32 v7, v19, v7
	v_mov_b32_e32 v19, v23
	s_delay_alu instid0(VALU_DEP_2)
	v_add_co_ci_u32_e32 v21, vcc_lo, v21, v7, vcc_lo
	global_store_b64 v[20:21], v[22:23], off
	s_waitcnt_vscnt null, 0x0
	global_atomic_cmpswap_b64 v[18:19], v34, v[16:19], s[2:3] offset:24 glc
	s_waitcnt vmcnt(0)
	v_cmp_ne_u64_e32 vcc_lo, v[18:19], v[22:23]
	s_and_b32 exec_lo, exec_lo, vcc_lo
	s_cbranch_execz .LBB0_352
; %bb.426:                              ;   in Loop: Header=BB0_353 Depth=2
	s_mov_b32 s1, 0
.LBB0_427:                              ;   Parent Loop BB0_38 Depth=1
                                        ;     Parent Loop BB0_353 Depth=2
                                        ; =>    This Inner Loop Header: Depth=3
	s_sleep 1
	global_store_b64 v[20:21], v[18:19], off
	s_waitcnt_vscnt null, 0x0
	global_atomic_cmpswap_b64 v[22:23], v34, v[16:19], s[2:3] offset:24 glc
	s_waitcnt vmcnt(0)
	v_cmp_eq_u64_e32 vcc_lo, v[22:23], v[18:19]
	v_dual_mov_b32 v18, v22 :: v_dual_mov_b32 v19, v23
	s_or_b32 s1, vcc_lo, s1
	s_delay_alu instid0(SALU_CYCLE_1)
	s_and_not1_b32 exec_lo, exec_lo, s1
	s_cbranch_execnz .LBB0_427
	s_branch .LBB0_352
.LBB0_428:                              ;   in Loop: Header=BB0_38 Depth=1
	s_mov_b32 s1, 1
	s_branch .LBB0_458
.LBB0_429:                              ;   in Loop: Header=BB0_38 Depth=1
                                        ; implicit-def: $sgpr1
	s_cbranch_execz .LBB0_458
; %bb.430:                              ;   in Loop: Header=BB0_38 Depth=1
	v_readfirstlane_b32 s1, v37
	s_waitcnt vmcnt(0)
	v_mov_b32_e32 v14, 0
	v_mov_b32_e32 v15, 0
	s_delay_alu instid0(VALU_DEP_3) | instskip(NEXT) | instid1(VALU_DEP_1)
	v_cmp_eq_u32_e64 s1, s1, v37
	s_and_saveexec_b32 s5, s1
	s_cbranch_execz .LBB0_436
; %bb.431:                              ;   in Loop: Header=BB0_38 Depth=1
	global_load_b64 v[16:17], v34, s[2:3] offset:24 glc
	s_waitcnt vmcnt(0)
	buffer_gl1_inv
	buffer_gl0_inv
	s_clause 0x1
	global_load_b64 v[14:15], v34, s[2:3] offset:40
	global_load_b64 v[18:19], v34, s[2:3]
	s_mov_b32 s6, exec_lo
	s_waitcnt vmcnt(1)
	v_and_b32_e32 v7, v15, v17
	v_and_b32_e32 v14, v14, v16
	s_delay_alu instid0(VALU_DEP_2) | instskip(NEXT) | instid1(VALU_DEP_2)
	v_mul_lo_u32 v7, v7, 24
	v_mul_hi_u32 v15, v14, 24
	v_mul_lo_u32 v14, v14, 24
	s_delay_alu instid0(VALU_DEP_2) | instskip(SKIP_1) | instid1(VALU_DEP_2)
	v_add_nc_u32_e32 v7, v15, v7
	s_waitcnt vmcnt(0)
	v_add_co_u32 v14, vcc_lo, v18, v14
	s_delay_alu instid0(VALU_DEP_2)
	v_add_co_ci_u32_e32 v15, vcc_lo, v19, v7, vcc_lo
	global_load_b64 v[14:15], v[14:15], off glc
	s_waitcnt vmcnt(0)
	global_atomic_cmpswap_b64 v[14:15], v34, v[14:17], s[2:3] offset:24 glc
	s_waitcnt vmcnt(0)
	buffer_gl1_inv
	buffer_gl0_inv
	v_cmpx_ne_u64_e64 v[14:15], v[16:17]
	s_cbranch_execz .LBB0_435
; %bb.432:                              ;   in Loop: Header=BB0_38 Depth=1
	s_mov_b32 s7, 0
	.p2align	6
.LBB0_433:                              ;   Parent Loop BB0_38 Depth=1
                                        ; =>  This Inner Loop Header: Depth=2
	s_sleep 1
	s_clause 0x1
	global_load_b64 v[18:19], v34, s[2:3] offset:40
	global_load_b64 v[20:21], v34, s[2:3]
	v_dual_mov_b32 v17, v15 :: v_dual_mov_b32 v16, v14
	s_waitcnt vmcnt(1)
	s_delay_alu instid0(VALU_DEP_1) | instskip(SKIP_1) | instid1(VALU_DEP_1)
	v_and_b32_e32 v7, v18, v16
	s_waitcnt vmcnt(0)
	v_mad_u64_u32 v[14:15], null, v7, 24, v[20:21]
	v_and_b32_e32 v20, v19, v17
	s_delay_alu instid0(VALU_DEP_2) | instskip(NEXT) | instid1(VALU_DEP_1)
	v_mov_b32_e32 v7, v15
	v_mad_u64_u32 v[18:19], null, v20, 24, v[7:8]
	s_delay_alu instid0(VALU_DEP_1)
	v_mov_b32_e32 v15, v18
	global_load_b64 v[14:15], v[14:15], off glc
	s_waitcnt vmcnt(0)
	global_atomic_cmpswap_b64 v[14:15], v34, v[14:17], s[2:3] offset:24 glc
	s_waitcnt vmcnt(0)
	buffer_gl1_inv
	buffer_gl0_inv
	v_cmp_eq_u64_e32 vcc_lo, v[14:15], v[16:17]
	s_or_b32 s7, vcc_lo, s7
	s_delay_alu instid0(SALU_CYCLE_1)
	s_and_not1_b32 exec_lo, exec_lo, s7
	s_cbranch_execnz .LBB0_433
; %bb.434:                              ;   in Loop: Header=BB0_38 Depth=1
	s_or_b32 exec_lo, exec_lo, s7
.LBB0_435:                              ;   in Loop: Header=BB0_38 Depth=1
	s_delay_alu instid0(SALU_CYCLE_1)
	s_or_b32 exec_lo, exec_lo, s6
.LBB0_436:                              ;   in Loop: Header=BB0_38 Depth=1
	s_delay_alu instid0(SALU_CYCLE_1)
	s_or_b32 exec_lo, exec_lo, s5
	s_clause 0x1
	global_load_b64 v[20:21], v34, s[2:3] offset:40
	global_load_b128 v[16:19], v34, s[2:3]
	v_readfirstlane_b32 s10, v14
	v_readfirstlane_b32 s11, v15
	s_mov_b32 s5, exec_lo
	s_waitcnt vmcnt(1)
	v_readfirstlane_b32 s6, v20
	v_readfirstlane_b32 s7, v21
	s_delay_alu instid0(VALU_DEP_1) | instskip(NEXT) | instid1(SALU_CYCLE_1)
	s_and_b64 s[6:7], s[10:11], s[6:7]
	s_mul_i32 s12, s7, 24
	s_mul_hi_u32 s13, s6, 24
	s_mul_i32 s14, s6, 24
	s_add_i32 s13, s13, s12
	s_waitcnt vmcnt(0)
	v_add_co_u32 v20, vcc_lo, v16, s14
	v_add_co_ci_u32_e32 v21, vcc_lo, s13, v17, vcc_lo
	s_and_saveexec_b32 s12, s1
	s_cbranch_execz .LBB0_438
; %bb.437:                              ;   in Loop: Header=BB0_38 Depth=1
	v_mov_b32_e32 v7, s5
	global_store_b128 v[20:21], v[7:10], off offset:8
.LBB0_438:                              ;   in Loop: Header=BB0_38 Depth=1
	s_or_b32 exec_lo, exec_lo, s12
	s_lshl_b64 s[6:7], s[6:7], 12
	s_mov_b32 s5, s4
	v_add_co_u32 v7, vcc_lo, v18, s6
	v_add_co_ci_u32_e32 v18, vcc_lo, s7, v19, vcc_lo
	s_mov_b32 s7, s4
	s_mov_b32 s6, s4
	v_and_or_b32 v12, 0xffffff1d, v12, 34
	v_dual_mov_b32 v14, v8 :: v_dual_mov_b32 v25, s7
	v_dual_mov_b32 v15, v8 :: v_dual_mov_b32 v24, s6
	v_readfirstlane_b32 s12, v7
	v_readfirstlane_b32 s13, v18
	v_dual_mov_b32 v23, s5 :: v_dual_mov_b32 v22, s4
	s_clause 0x3
	global_store_b128 v49, v[12:15], s[12:13]
	global_store_b128 v49, v[22:25], s[12:13] offset:16
	global_store_b128 v49, v[22:25], s[12:13] offset:32
	;; [unrolled: 1-line block ×3, first 2 shown]
	s_and_saveexec_b32 s5, s1
	s_cbranch_execz .LBB0_446
; %bb.439:                              ;   in Loop: Header=BB0_38 Depth=1
	s_clause 0x1
	global_load_b64 v[24:25], v34, s[2:3] offset:32 glc
	global_load_b64 v[12:13], v34, s[2:3] offset:40
	v_dual_mov_b32 v22, s10 :: v_dual_mov_b32 v23, s11
	s_waitcnt vmcnt(0)
	v_readfirstlane_b32 s6, v12
	v_readfirstlane_b32 s7, v13
	s_delay_alu instid0(VALU_DEP_1) | instskip(NEXT) | instid1(SALU_CYCLE_1)
	s_and_b64 s[6:7], s[6:7], s[10:11]
	s_mul_i32 s7, s7, 24
	s_mul_hi_u32 s12, s6, 24
	s_mul_i32 s6, s6, 24
	s_add_i32 s12, s12, s7
	v_add_co_u32 v16, vcc_lo, v16, s6
	v_add_co_ci_u32_e32 v17, vcc_lo, s12, v17, vcc_lo
	s_mov_b32 s6, exec_lo
	global_store_b64 v[16:17], v[24:25], off
	s_waitcnt_vscnt null, 0x0
	global_atomic_cmpswap_b64 v[14:15], v34, v[22:25], s[2:3] offset:32 glc
	s_waitcnt vmcnt(0)
	v_cmpx_ne_u64_e64 v[14:15], v[24:25]
	s_cbranch_execz .LBB0_442
; %bb.440:                              ;   in Loop: Header=BB0_38 Depth=1
	s_mov_b32 s7, 0
.LBB0_441:                              ;   Parent Loop BB0_38 Depth=1
                                        ; =>  This Inner Loop Header: Depth=2
	v_dual_mov_b32 v12, s10 :: v_dual_mov_b32 v13, s11
	s_sleep 1
	global_store_b64 v[16:17], v[14:15], off
	s_waitcnt_vscnt null, 0x0
	global_atomic_cmpswap_b64 v[12:13], v34, v[12:15], s[2:3] offset:32 glc
	s_waitcnt vmcnt(0)
	v_cmp_eq_u64_e32 vcc_lo, v[12:13], v[14:15]
	v_dual_mov_b32 v15, v13 :: v_dual_mov_b32 v14, v12
	s_or_b32 s7, vcc_lo, s7
	s_delay_alu instid0(SALU_CYCLE_1)
	s_and_not1_b32 exec_lo, exec_lo, s7
	s_cbranch_execnz .LBB0_441
.LBB0_442:                              ;   in Loop: Header=BB0_38 Depth=1
	s_or_b32 exec_lo, exec_lo, s6
	global_load_b64 v[12:13], v34, s[2:3] offset:16
	s_mov_b32 s7, exec_lo
	s_mov_b32 s6, exec_lo
	v_mbcnt_lo_u32_b32 v7, s7, 0
	s_delay_alu instid0(VALU_DEP_1)
	v_cmpx_eq_u32_e32 0, v7
	s_cbranch_execz .LBB0_444
; %bb.443:                              ;   in Loop: Header=BB0_38 Depth=1
	s_bcnt1_i32_b32 s7, s7
	s_delay_alu instid0(SALU_CYCLE_1)
	v_mov_b32_e32 v7, s7
	s_waitcnt vmcnt(0)
	global_atomic_add_u64 v[12:13], v[7:8], off offset:8
.LBB0_444:                              ;   in Loop: Header=BB0_38 Depth=1
	s_or_b32 exec_lo, exec_lo, s6
	s_waitcnt vmcnt(0)
	global_load_b64 v[14:15], v[12:13], off offset:16
	s_waitcnt vmcnt(0)
	v_cmp_eq_u64_e32 vcc_lo, 0, v[14:15]
	s_cbranch_vccnz .LBB0_446
; %bb.445:                              ;   in Loop: Header=BB0_38 Depth=1
	global_load_b32 v33, v[12:13], off offset:24
	s_waitcnt vmcnt(0)
	v_and_b32_e32 v7, 0xffffff, v33
	s_waitcnt_vscnt null, 0x0
	global_store_b64 v[14:15], v[33:34], off
	v_readfirstlane_b32 m0, v7
	s_sendmsg sendmsg(MSG_INTERRUPT)
.LBB0_446:                              ;   in Loop: Header=BB0_38 Depth=1
	s_or_b32 exec_lo, exec_lo, s5
	s_branch .LBB0_450
	.p2align	6
.LBB0_447:                              ;   in Loop: Header=BB0_450 Depth=2
	s_or_b32 exec_lo, exec_lo, s5
	s_delay_alu instid0(VALU_DEP_1) | instskip(NEXT) | instid1(VALU_DEP_1)
	v_readfirstlane_b32 s5, v7
	s_cmp_eq_u32 s5, 0
	s_cbranch_scc1 .LBB0_449
; %bb.448:                              ;   in Loop: Header=BB0_450 Depth=2
	s_sleep 1
	s_cbranch_execnz .LBB0_450
	s_branch .LBB0_452
	.p2align	6
.LBB0_449:                              ;   in Loop: Header=BB0_38 Depth=1
	s_branch .LBB0_452
.LBB0_450:                              ;   Parent Loop BB0_38 Depth=1
                                        ; =>  This Inner Loop Header: Depth=2
	v_mov_b32_e32 v7, 1
	s_and_saveexec_b32 s5, s1
	s_cbranch_execz .LBB0_447
; %bb.451:                              ;   in Loop: Header=BB0_450 Depth=2
	global_load_b32 v7, v[20:21], off offset:20 glc
	s_waitcnt vmcnt(0)
	buffer_gl1_inv
	buffer_gl0_inv
	v_and_b32_e32 v7, 1, v7
	s_branch .LBB0_447
.LBB0_452:                              ;   in Loop: Header=BB0_38 Depth=1
	s_and_saveexec_b32 s5, s1
	s_delay_alu instid0(SALU_CYCLE_1)
	s_xor_b32 s1, exec_lo, s5
	s_cbranch_execz .LBB0_457
; %bb.453:                              ;   in Loop: Header=BB0_38 Depth=1
	s_clause 0x2
	global_load_b64 v[14:15], v34, s[2:3] offset:40
	global_load_b64 v[18:19], v34, s[2:3] offset:24 glc
	global_load_b64 v[16:17], v34, s[2:3]
	s_mov_b32 s5, exec_lo
	s_waitcnt vmcnt(2)
	v_add_co_u32 v7, vcc_lo, v14, 1
	v_add_co_ci_u32_e32 v20, vcc_lo, 0, v15, vcc_lo
	s_delay_alu instid0(VALU_DEP_2) | instskip(NEXT) | instid1(VALU_DEP_2)
	v_add_co_u32 v12, vcc_lo, v7, s10
	v_add_co_ci_u32_e32 v13, vcc_lo, s11, v20, vcc_lo
	s_delay_alu instid0(VALU_DEP_1) | instskip(SKIP_1) | instid1(VALU_DEP_1)
	v_cmp_eq_u64_e32 vcc_lo, 0, v[12:13]
	v_dual_cndmask_b32 v13, v13, v20 :: v_dual_cndmask_b32 v12, v12, v7
	v_and_b32_e32 v7, v13, v15
	s_delay_alu instid0(VALU_DEP_2) | instskip(NEXT) | instid1(VALU_DEP_1)
	v_and_b32_e32 v14, v12, v14
	v_mul_hi_u32 v15, v14, 24
	v_mul_lo_u32 v14, v14, 24
	s_waitcnt vmcnt(0)
	s_delay_alu instid0(VALU_DEP_1) | instskip(SKIP_2) | instid1(VALU_DEP_1)
	v_add_co_u32 v16, vcc_lo, v16, v14
	v_mov_b32_e32 v14, v18
	v_mul_lo_u32 v7, v7, 24
	v_add_nc_u32_e32 v7, v15, v7
	v_mov_b32_e32 v15, v19
	s_delay_alu instid0(VALU_DEP_2)
	v_add_co_ci_u32_e32 v17, vcc_lo, v17, v7, vcc_lo
	global_store_b64 v[16:17], v[18:19], off
	s_waitcnt_vscnt null, 0x0
	global_atomic_cmpswap_b64 v[14:15], v34, v[12:15], s[2:3] offset:24 glc
	s_waitcnt vmcnt(0)
	v_cmpx_ne_u64_e64 v[14:15], v[18:19]
	s_cbranch_execz .LBB0_456
; %bb.454:                              ;   in Loop: Header=BB0_38 Depth=1
	s_mov_b32 s6, 0
.LBB0_455:                              ;   Parent Loop BB0_38 Depth=1
                                        ; =>  This Inner Loop Header: Depth=2
	s_sleep 1
	global_store_b64 v[16:17], v[14:15], off
	s_waitcnt_vscnt null, 0x0
	global_atomic_cmpswap_b64 v[18:19], v34, v[12:15], s[2:3] offset:24 glc
	s_waitcnt vmcnt(0)
	v_cmp_eq_u64_e32 vcc_lo, v[18:19], v[14:15]
	v_dual_mov_b32 v14, v18 :: v_dual_mov_b32 v15, v19
	s_or_b32 s6, vcc_lo, s6
	s_delay_alu instid0(SALU_CYCLE_1)
	s_and_not1_b32 exec_lo, exec_lo, s6
	s_cbranch_execnz .LBB0_455
.LBB0_456:                              ;   in Loop: Header=BB0_38 Depth=1
	s_or_b32 exec_lo, exec_lo, s5
.LBB0_457:                              ;   in Loop: Header=BB0_38 Depth=1
	s_delay_alu instid0(SALU_CYCLE_1)
	s_or_b32 exec_lo, exec_lo, s1
	s_mov_b32 s1, 1
.LBB0_458:                              ;   in Loop: Header=BB0_38 Depth=1
	s_waitcnt vmcnt(0)
	v_dual_mov_b32 v14, s1 :: v_dual_mov_b32 v7, v38
.LBB0_459:                              ;   in Loop: Header=BB0_38 Depth=1
	s_or_b32 exec_lo, exec_lo, s22
.LBB0_460:                              ;   in Loop: Header=BB0_38 Depth=1
	s_delay_alu instid0(SALU_CYCLE_1)
	s_or_b32 exec_lo, exec_lo, s21
	s_branch .LBB0_38
.LBB0_461:
	v_mad_u64_u32 v[2:3], null, v39, 56, v[0:1]
	s_delay_alu instid0(VALU_DEP_1)
	v_dual_mov_b32 v0, v2 :: v_dual_mov_b32 v1, v3
	s_waitcnt lgkmcnt(0)
	s_setpc_b64 s[30:31]
.LBB0_462:
	s_mov_b32 s0, exec_lo
	v_cmpx_lt_i32_e32 2, v9
	s_cbranch_execz .LBB0_464
; %bb.463:
	flat_load_u8 v9, v[7:8] offset:2
	s_waitcnt vmcnt(0) lgkmcnt(0)
	v_lshlrev_b32_e32 v9, 16, v9
	s_delay_alu instid0(VALU_DEP_1)
	v_xor_b32_e32 v5, v9, v5
.LBB0_464:
	s_or_b32 exec_lo, exec_lo, s0
	flat_load_u8 v9, v[7:8] offset:1
	s_mov_b32 s0, exec_lo
	s_waitcnt vmcnt(0) lgkmcnt(0)
	v_lshlrev_b32_e32 v9, 8, v9
	s_delay_alu instid0(VALU_DEP_1)
	v_xor_b32_e32 v5, v9, v5
                                        ; implicit-def: $vgpr9
	s_and_not1_saveexec_b32 s2, s2
	s_cbranch_execz .LBB0_7
.LBB0_465:
	v_cmp_eq_u32_e32 vcc_lo, 1, v9
	s_and_not1_b32 s0, s0, exec_lo
	s_and_b32 s3, vcc_lo, exec_lo
	s_delay_alu instid0(SALU_CYCLE_1)
	s_or_b32 s0, s0, s3
	s_or_b32 exec_lo, exec_lo, s2
	s_and_saveexec_b32 s2, s0
	s_cbranch_execnz .LBB0_8
	s_branch .LBB0_9
.LBB0_466:
	flat_load_u8 v14, v[7:8] offset:2
	s_mov_b32 s2, exec_lo
	s_waitcnt vmcnt(0) lgkmcnt(0)
	v_lshlrev_b32_e32 v14, 16, v14
	s_or_saveexec_b32 s3, s3
                                        ; implicit-def: $sgpr4
	s_delay_alu instid0(SALU_CYCLE_1)
	s_xor_b32 exec_lo, exec_lo, s3
	s_cbranch_execz .LBB0_22
.LBB0_467:
	v_cmp_eq_u32_e32 vcc_lo, 2, v9
	v_mov_b32_e32 v14, 0
	s_and_not1_b32 s2, s2, exec_lo
	s_mov_b32 s4, 0
	s_and_b32 s5, vcc_lo, exec_lo
	s_delay_alu instid0(SALU_CYCLE_1)
	s_or_b32 s2, s2, s5
	s_or_b32 exec_lo, exec_lo, s3
	v_mov_b32_e32 v15, s4
	s_and_saveexec_b32 s3, s2
	s_cbranch_execnz .LBB0_23
	s_branch .LBB0_24
.LBB0_468:
	s_mov_b32 s4, exec_lo
	v_cmpx_eq_u32_e32 2, v9
	s_cbranch_execz .LBB0_470
; %bb.469:
	flat_load_u8 v9, v[7:8] offset:1
	s_mov_b32 s2, exec_lo
	s_waitcnt vmcnt(0) lgkmcnt(0)
	v_lshlrev_b32_e32 v9, 8, v9
	s_delay_alu instid0(VALU_DEP_1)
	v_xor_b32_e32 v5, v9, v5
.LBB0_470:
	s_or_b32 exec_lo, exec_lo, s4
	s_delay_alu instid0(SALU_CYCLE_1)
	s_and_b32 s2, s2, exec_lo
                                        ; implicit-def: $vgpr9
	s_and_not1_saveexec_b32 s3, s3
	s_cbranch_execz .LBB0_26
.LBB0_471:
	v_cmp_eq_u32_e32 vcc_lo, 1, v9
	s_and_not1_b32 s2, s2, exec_lo
	s_and_b32 s4, vcc_lo, exec_lo
	s_delay_alu instid0(SALU_CYCLE_1)
	s_or_b32 s2, s2, s4
	s_or_b32 exec_lo, exec_lo, s3
	s_and_saveexec_b32 s3, s2
	s_cbranch_execnz .LBB0_27
	s_branch .LBB0_28
.LBB0_472:
	flat_load_u8 v9, v[7:8] offset:1
	s_mov_b32 s2, exec_lo
                                        ; implicit-def: $vgpr13
	s_waitcnt vmcnt(0) lgkmcnt(0)
	v_lshlrev_b32_e32 v9, 8, v9
	s_and_not1_saveexec_b32 s3, s3
	s_cbranch_execz .LBB0_32
.LBB0_473:
	v_cmp_eq_u32_e32 vcc_lo, 1, v13
	v_mov_b32_e32 v9, 0
	s_and_not1_b32 s2, s2, exec_lo
	s_and_b32 s4, vcc_lo, exec_lo
	s_delay_alu instid0(SALU_CYCLE_1)
	s_or_b32 s2, s2, s4
	s_or_b32 exec_lo, exec_lo, s3
	s_and_saveexec_b32 s3, s2
	s_cbranch_execnz .LBB0_33
	s_branch .LBB0_34
.Lfunc_end0:
	.size	_Z13ht_get_atomicP6loc_ht9cstr_typej, .Lfunc_end0-_Z13ht_get_atomicP6loc_ht9cstr_typej
                                        ; -- End function
	.section	.AMDGPU.csdata,"",@progbits
; Function info:
; codeLenInByte = 17040
; NumSgprs: 34
; NumVgprs: 52
; ScratchSize: 0
; MemoryBound: 0
	.section	.text._Z22iterative_walks_kernelILi32EEvPjS0_PcS1_S1_S0_S0_PdP6loc_htS0_P11loc_ht_boolijS0_llliijS1_S1_S0_i,"axG",@progbits,_Z22iterative_walks_kernelILi32EEvPjS0_PcS1_S1_S0_S0_PdP6loc_htS0_P11loc_ht_boolijS0_llliijS1_S1_S0_i,comdat
	.protected	_Z22iterative_walks_kernelILi32EEvPjS0_PcS1_S1_S0_S0_PdP6loc_htS0_P11loc_ht_boolijS0_llliijS1_S1_S0_i ; -- Begin function _Z22iterative_walks_kernelILi32EEvPjS0_PcS1_S1_S0_S0_PdP6loc_htS0_P11loc_ht_boolijS0_llliijS1_S1_S0_i
	.globl	_Z22iterative_walks_kernelILi32EEvPjS0_PcS1_S1_S0_S0_PdP6loc_htS0_P11loc_ht_boolijS0_llliijS1_S1_S0_i
	.p2align	8
	.type	_Z22iterative_walks_kernelILi32EEvPjS0_PcS1_S1_S0_S0_PdP6loc_htS0_P11loc_ht_boolijS0_llliijS1_S1_S0_i,@function
_Z22iterative_walks_kernelILi32EEvPjS0_PcS1_S1_S0_S0_PdP6loc_htS0_P11loc_ht_boolijS0_llliijS1_S1_S0_i: ; @_Z22iterative_walks_kernelILi32EEvPjS0_PcS1_S1_S0_S0_PdP6loc_htS0_P11loc_ht_boolijS0_llliijS1_S1_S0_i
; %bb.0:
	s_mov_b64 s[26:27], s[0:1]
	s_load_b32 s0, s[0:1], 0xbc
	s_load_b32 s1, s[26:27], 0xa8
	s_add_u32 s52, s26, 0xb0
	s_addc_u32 s53, s27, 0
	s_movk_i32 s32, 0x60
	s_waitcnt lgkmcnt(0)
	s_and_b32 s0, s0, 0xffff
	s_delay_alu instid0(SALU_CYCLE_1) | instskip(SKIP_1) | instid1(VALU_DEP_1)
	v_mad_u64_u32 v[1:2], null, s15, s0, v[0:1]
	s_mov_b32 s0, exec_lo
	v_lshrrev_b32_e32 v7, 5, v1
	s_delay_alu instid0(VALU_DEP_1)
	v_cmpx_gt_i32_e64 s1, v7
	s_cbranch_execz .LBB1_710
; %bb.1:
	s_clause 0x4
	s_load_b512 s[36:51], s[26:27], 0x8
	s_load_b128 s[4:7], s[26:27], 0x48
	s_load_b64 s[2:3], s[26:27], 0x58
	s_load_b64 s[54:55], s[26:27], 0x70
	s_load_b128 s[8:11], s[26:27], 0x90
	v_cmp_lt_u32_e64 s28, 31, v1
	v_lshlrev_b32_e32 v80, 2, v7
                                        ; implicit-def: $vgpr46_vgpr47
                                        ; implicit-def: $vgpr60_vgpr61
                                        ; implicit-def: $vgpr64_vgpr65
                                        ; implicit-def: $vgpr68_vgpr69
                                        ; implicit-def: $vgpr62_vgpr63
                                        ; implicit-def: $vgpr45
                                        ; implicit-def: $vgpr43_vgpr44
                                        ; implicit-def: $vgpr81
                                        ; implicit-def: $vgpr66_vgpr67
                                        ; implicit-def: $vgpr82
                                        ; implicit-def: $vgpr1_vgpr2
	s_delay_alu instid0(VALU_DEP_2) | instskip(NEXT) | instid1(SALU_CYCLE_1)
	s_and_saveexec_b32 s0, s28
	s_xor_b32 s1, exec_lo, s0
	s_cbranch_execz .LBB1_7
; %bb.2:
	s_waitcnt lgkmcnt(0)
	global_load_b64 v[3:4], v80, s[46:47] offset:-4
	v_lshlrev_b32_e32 v1, 3, v7
	v_dual_mov_b32 v47, s41 :: v_dual_mov_b32 v46, s40
	global_load_b64 v[5:6], v80, s[36:37] offset:-4
	global_load_b64 v[1:2], v1, s[48:49]
	s_waitcnt vmcnt(2)
	v_cmp_ne_u32_e32 vcc_lo, 0, v3
	s_and_saveexec_b32 s12, vcc_lo
	s_cbranch_execz .LBB1_4
; %bb.3:
	v_dual_mov_b32 v9, 0 :: v_dual_add_nc_u32 v8, -1, v3
	s_delay_alu instid0(VALU_DEP_1) | instskip(NEXT) | instid1(VALU_DEP_1)
	v_lshlrev_b64 v[8:9], 2, v[8:9]
	v_add_co_u32 v8, s0, s44, v8
	s_delay_alu instid0(VALU_DEP_1) | instskip(SKIP_3) | instid1(VALU_DEP_1)
	v_add_co_ci_u32_e64 v9, s0, s45, v9, s0
	global_load_b32 v8, v[8:9], off
	s_waitcnt vmcnt(0)
	v_add_co_u32 v46, s0, s40, v8
	v_add_co_ci_u32_e64 v47, null, s41, 0, s0
.LBB1_4:
	s_or_b32 exec_lo, exec_lo, s12
	v_dual_mov_b32 v61, s43 :: v_dual_mov_b32 v60, s42
	s_and_saveexec_b32 s0, vcc_lo
	s_cbranch_execz .LBB1_6
; %bb.5:
	v_dual_mov_b32 v9, 0 :: v_dual_add_nc_u32 v8, -1, v3
	s_delay_alu instid0(VALU_DEP_1) | instskip(NEXT) | instid1(VALU_DEP_1)
	v_lshlrev_b64 v[8:9], 2, v[8:9]
	v_add_co_u32 v8, vcc_lo, s44, v8
	s_delay_alu instid0(VALU_DEP_2) | instskip(SKIP_3) | instid1(VALU_DEP_1)
	v_add_co_ci_u32_e32 v9, vcc_lo, s45, v9, vcc_lo
	global_load_b32 v8, v[8:9], off
	s_waitcnt vmcnt(0)
	v_add_co_u32 v60, s12, s42, v8
	v_add_co_ci_u32_e64 v61, null, s43, 0, s12
.LBB1_6:
	s_or_b32 exec_lo, exec_lo, s0
	global_load_b64 v[8:9], v80, s[4:5] offset:-4
	v_mad_u64_u32 v[10:11], null, v7, s54, 0
	s_add_u32 s0, s3, s54
	s_waitcnt vmcnt(2)
	v_sub_nc_u32_e32 v81, v6, v5
	v_mad_u64_u32 v[64:65], null, s0, v7, s[10:11]
	v_add_co_u32 v66, s0, s38, v5
	s_delay_alu instid0(VALU_DEP_4) | instskip(SKIP_4) | instid1(VALU_DEP_4)
	v_mad_u64_u32 v[62:63], null, v10, 24, s[6:7]
	v_mad_u64_u32 v[12:13], null, v7, s55, v[11:12]
	v_add_co_ci_u32_e64 v67, null, s39, 0, s0
	s_addc_u32 s0, 0, s55
	v_add_co_u32 v68, vcc_lo, s8, v10
	v_mov_b32_e32 v11, v63
	s_delay_alu instid0(VALU_DEP_4) | instskip(SKIP_1) | instid1(VALU_DEP_3)
	v_add_co_ci_u32_e32 v69, vcc_lo, s9, v12, vcc_lo
	v_sub_nc_u32_e32 v82, v4, v3
	v_mad_u64_u32 v[13:14], null, v12, 24, v[11:12]
	v_mov_b32_e32 v11, v65
	s_delay_alu instid0(VALU_DEP_1) | instskip(NEXT) | instid1(VALU_DEP_3)
	v_mad_u64_u32 v[5:6], null, s0, v7, v[11:12]
	v_mov_b32_e32 v63, v13
	s_delay_alu instid0(VALU_DEP_2)
	v_mov_b32_e32 v65, v5
	s_waitcnt vmcnt(0)
	v_mad_u64_u32 v[43:44], null, v8, 56, s[50:51]
	v_sub_nc_u32_e32 v45, v9, v8
.LBB1_7:
	s_or_saveexec_b32 s0, s1
	s_load_b64 s[56:57], s[26:27], 0xa0
	s_xor_b32 exec_lo, exec_lo, s0
	s_cbranch_execz .LBB1_9
; %bb.8:
	s_waitcnt lgkmcnt(0)
	s_load_b64 s[12:13], s[48:49], 0x0
	s_load_b32 s1, s[46:47], 0x0
	s_load_b32 s3, s[36:37], 0x0
	;; [unrolled: 1-line block ×3, first 2 shown]
	v_mov_b32_e32 v47, s41
	v_dual_mov_b32 v67, s39 :: v_dual_mov_b32 v66, s38
	v_dual_mov_b32 v43, s50 :: v_dual_mov_b32 v44, s51
	;; [unrolled: 1-line block ×6, first 2 shown]
	s_waitcnt lgkmcnt(0)
	v_dual_mov_b32 v46, s40 :: v_dual_mov_b32 v1, s12
	v_mov_b32_e32 v2, s13
	v_dual_mov_b32 v82, s1 :: v_dual_mov_b32 v81, s3
	v_mov_b32_e32 v45, s4
.LBB1_9:
	s_or_b32 exec_lo, exec_lo, s0
	s_delay_alu instid0(VALU_DEP_2)
	v_min_i32_e32 v83, 0x79, v81
	s_waitcnt lgkmcnt(0)
	s_cmp_gt_i32 s2, 20
	v_and_b32_e32 v70, 31, v0
	v_mov_b32_e32 v96, 0
	s_cselect_b32 s0, -1, 0
	v_cmp_le_i32_e32 vcc_lo, s2, v83
	s_and_b32 s0, s0, vcc_lo
	s_delay_alu instid0(SALU_CYCLE_1)
	s_and_saveexec_b32 s40, s0
	s_cbranch_execz .LBB1_708
; %bb.10:
	v_cvt_i32_f64_e32 v0, v[1:2]
	s_mov_b32 s0, 0x9999999a
	s_mov_b32 s4, 0x33333333
	;; [unrolled: 1-line block ×4, first 2 shown]
	v_cvt_f32_u32_e32 v4, s54
	v_cvt_f32_u32_e32 v5, v45
	v_sub_nc_u32_e32 v6, 0, v45
	s_load_b32 s42, s[26:27], 0x88
	v_dual_mov_b32 v55, 1 :: v_dual_mov_b32 v54, 2
	v_rcp_iflag_f32_e32 v4, v4
	v_rcp_iflag_f32_e32 v5, v5
	v_cmp_lt_u32_e64 s29, v70, v45
	v_cmp_ne_u32_e64 s33, 0, v82
	v_add_nc_u32_e64 v84, 16, 16
	v_add_nc_u32_e64 v85, 16, 32
	;; [unrolled: 1-line block ×3, first 2 shown]
	v_cmp_eq_u32_e64 s35, 0, v70
	v_or_b32_e32 v89, 32, v70
	v_mbcnt_lo_u32_b32 v91, -1, 0
	s_delay_alu instid0(TRANS32_DEP_1) | instskip(SKIP_2) | instid1(VALU_DEP_3)
	v_dual_mul_f32 v4, 0x4f7ffffe, v4 :: v_dual_mul_f32 v5, 0x4f7ffffe, v5
	v_dual_mov_b32 v56, 33 :: v_dual_mov_b32 v93, 0x43
	v_dual_mov_b32 v92, 0x41 :: v_dual_mov_b32 v97, v55
	v_cvt_u32_f32_e32 v5, v5
	s_delay_alu instid0(VALU_DEP_4)
	v_cvt_u32_f32_e32 v4, v4
	v_mov_b32_e32 v94, 0x47
	s_mov_b32 s36, 0
	s_mov_b32 s49, 0
	v_mul_lo_u32 v6, v6, v5
	v_mov_b32_e32 v42, s2
	v_mov_b32_e32 v90, -1
	v_cvt_f64_i32_e32 v[0:1], v0
	s_delay_alu instid0(VALU_DEP_1) | instskip(SKIP_4) | instid1(SALU_CYCLE_1)
	v_mul_f64 v[2:3], v[0:1], s[0:1]
	v_mul_f64 v[0:1], v[0:1], s[4:5]
	s_getpc_b64 s[0:1]
	s_add_u32 s0, s0, .str.3@rel32@lo+4
	s_addc_u32 s1, s1, .str.3@rel32@hi+12
	s_cmp_lg_u64 s[0:1], 0
	s_cselect_b32 s41, -1, 0
	s_getpc_b64 s[0:1]
	s_add_u32 s0, s0, .str.4@rel32@lo+4
	s_addc_u32 s1, s1, .str.4@rel32@hi+12
	s_delay_alu instid0(SALU_CYCLE_1) | instskip(SKIP_4) | instid1(SALU_CYCLE_1)
	s_cmp_lg_u64 s[0:1], 0
	s_cselect_b32 s43, -1, 0
	s_cmp_gt_i32 s54, 0
	s_cselect_b32 s48, -1, 0
	s_sub_i32 s0, 0, s54
	v_mul_lo_u32 v7, s0, v4
	v_add_co_u32 v76, s0, s46, v80
	s_delay_alu instid0(VALU_DEP_1)
	v_add_co_ci_u32_e64 v77, null, s47, 0, s0
	v_max_f64 v[72:73], v[2:3], 2.0
	v_max_f64 v[74:75], v[0:1], 2.0
	v_mul_hi_u32 v3, v5, v6
	v_mov_b32_e32 v53, 0
	v_mad_u64_u32 v[0:1], null, v70, 56, v[43:44]
	v_mul_hi_u32 v2, v4, v7
	s_delay_alu instid0(VALU_DEP_4) | instskip(NEXT) | instid1(VALU_DEP_4)
	v_add_nc_u32_e32 v88, v5, v3
	v_mov_b32_e32 v71, v53
	s_delay_alu instid0(VALU_DEP_4) | instskip(NEXT) | instid1(VALU_DEP_4)
	v_add_co_u32 v78, vcc_lo, v0, 8
	v_add_nc_u32_e32 v87, v4, v2
	v_add_co_ci_u32_e32 v79, vcc_lo, 0, v1, vcc_lo
	s_delay_alu instid0(VALU_DEP_4)
	v_cmp_gt_i64_e64 s34, s[54:55], v[70:71]
	v_dual_mov_b32 v95, 0x54 :: v_dual_mov_b32 v98, v53
	v_mov_b32_e32 v96, v53
	s_branch .LBB1_13
.LBB1_11:                               ;   in Loop: Header=BB1_13 Depth=1
	s_or_b32 exec_lo, exec_lo, s2
	s_delay_alu instid0(SALU_CYCLE_1)
	s_or_not1_b32 s4, s0, exec_lo
.LBB1_12:                               ;   in Loop: Header=BB1_13 Depth=1
	s_or_b32 exec_lo, exec_lo, s1
	s_delay_alu instid0(SALU_CYCLE_1) | instskip(NEXT) | instid1(SALU_CYCLE_1)
	s_and_b32 s0, exec_lo, s4
	s_or_b32 s49, s0, s49
	s_delay_alu instid0(SALU_CYCLE_1)
	s_and_not1_b32 exec_lo, exec_lo, s49
	s_cbranch_execz .LBB1_707
.LBB1_13:                               ; =>This Loop Header: Depth=1
                                        ;     Child Loop BB1_15 Depth 2
                                        ;     Child Loop BB1_20 Depth 2
                                        ;       Child Loop BB1_34 Depth 3
                                        ;         Child Loop BB1_38 Depth 4
                                        ;         Child Loop BB1_46 Depth 4
	;; [unrolled: 1-line block ×9, first 2 shown]
                                        ;           Child Loop BB1_67 Depth 5
                                        ;           Child Loop BB1_74 Depth 5
                                        ;           Child Loop BB1_81 Depth 5
                                        ;           Child Loop BB1_88 Depth 5
                                        ;           Child Loop BB1_95 Depth 5
                                        ;           Child Loop BB1_102 Depth 5
                                        ;           Child Loop BB1_109 Depth 5
                                        ;           Child Loop BB1_116 Depth 5
                                        ;           Child Loop BB1_124 Depth 5
                                        ;           Child Loop BB1_133 Depth 5
                                        ;           Child Loop BB1_138 Depth 5
                                        ;     Child Loop BB1_214 Depth 2
                                        ;       Child Loop BB1_323 Depth 3
                                        ;       Child Loop BB1_331 Depth 3
                                        ;       Child Loop BB1_340 Depth 3
                                        ;       Child Loop BB1_417 Depth 3
                                        ;       Child Loop BB1_501 Depth 3
                                        ;       Child Loop BB1_509 Depth 3
                                        ;       Child Loop BB1_518 Depth 3
                                        ;       Child Loop BB1_523 Depth 3
                                        ;       Child Loop BB1_421 Depth 3
                                        ;         Child Loop BB1_424 Depth 4
                                        ;         Child Loop BB1_431 Depth 4
	;; [unrolled: 1-line block ×11, first 2 shown]
                                        ;     Child Loop BB1_560 Depth 2
                                        ;     Child Loop BB1_563 Depth 2
	;; [unrolled: 1-line block ×3, first 2 shown]
                                        ;       Child Loop BB1_575 Depth 3
                                        ;       Child Loop BB1_594 Depth 3
	;; [unrolled: 1-line block ×3, first 2 shown]
                                        ;         Child Loop BB1_605 Depth 4
                                        ;       Child Loop BB1_619 Depth 3
                                        ;       Child Loop BB1_638 Depth 3
	;; [unrolled: 1-line block ×3, first 2 shown]
                                        ;         Child Loop BB1_649 Depth 4
                                        ;     Child Loop BB1_693 Depth 2
	s_and_saveexec_b32 s1, s29
	s_cbranch_execz .LBB1_16
; %bb.14:                               ;   in Loop: Header=BB1_13 Depth=1
	v_dual_mov_b32 v0, v78 :: v_dual_mov_b32 v1, v79
	v_mov_b32_e32 v2, v70
	s_mov_b32 s2, 0
.LBB1_15:                               ;   Parent Loop BB1_13 Depth=1
                                        ; =>  This Inner Loop Header: Depth=2
	s_delay_alu instid0(VALU_DEP_1) | instskip(SKIP_2) | instid1(VALU_DEP_1)
	v_add_nc_u32_e32 v2, 32, v2
	global_store_b32 v[0:1], v90, off
	v_add_co_u32 v0, s0, 0x700, v0
	v_add_co_ci_u32_e64 v1, s0, 0, v1, s0
	v_cmp_ge_u32_e32 vcc_lo, v2, v45
	s_or_b32 s2, vcc_lo, s2
	s_delay_alu instid0(SALU_CYCLE_1)
	s_and_not1_b32 exec_lo, exec_lo, s2
	s_cbranch_execnz .LBB1_15
.LBB1_16:                               ;   in Loop: Header=BB1_13 Depth=1
	s_or_b32 exec_lo, exec_lo, s1
	s_and_saveexec_b32 s50, s33
	s_cbranch_execz .LBB1_210
; %bb.17:                               ;   in Loop: Header=BB1_13 Depth=1
	v_mov_b32_e32 v40, 0
	s_mov_b32 s51, 0
	s_mov_b32 s58, 0
	s_branch .LBB1_20
.LBB1_18:                               ;   in Loop: Header=BB1_20 Depth=2
	s_or_b32 exec_lo, exec_lo, s60
	v_add_nc_u32_e32 v40, v41, v40
.LBB1_19:                               ;   in Loop: Header=BB1_20 Depth=2
	s_or_b32 exec_lo, exec_lo, s59
	s_add_i32 s58, s58, 1
	s_delay_alu instid0(SALU_CYCLE_1) | instskip(SKIP_1) | instid1(SALU_CYCLE_1)
	v_cmp_eq_u32_e32 vcc_lo, s58, v82
	s_or_b32 s51, vcc_lo, s51
	s_and_not1_b32 exec_lo, exec_lo, s51
	s_cbranch_execz .LBB1_210
.LBB1_20:                               ;   Parent Loop BB1_13 Depth=1
                                        ; =>  This Loop Header: Depth=2
                                        ;       Child Loop BB1_34 Depth 3
                                        ;         Child Loop BB1_38 Depth 4
                                        ;         Child Loop BB1_46 Depth 4
	;; [unrolled: 1-line block ×9, first 2 shown]
                                        ;           Child Loop BB1_67 Depth 5
                                        ;           Child Loop BB1_74 Depth 5
	;; [unrolled: 1-line block ×11, first 2 shown]
	s_cmp_lg_u32 s58, 0
	s_cbranch_scc0 .LBB1_23
; %bb.21:                               ;   in Loop: Header=BB1_20 Depth=2
	global_load_b32 v0, v[76:77], off
	s_waitcnt vmcnt(0)
	v_sub_nc_u32_e32 v0, v0, v82
	s_delay_alu instid0(VALU_DEP_1) | instskip(NEXT) | instid1(VALU_DEP_1)
	v_add_nc_u32_e32 v52, s58, v0
	v_lshlrev_b64 v[0:1], 2, v[52:53]
	v_add_nc_u32_e32 v52, -1, v52
	s_delay_alu instid0(VALU_DEP_1) | instskip(NEXT) | instid1(VALU_DEP_3)
	v_lshlrev_b64 v[2:3], 2, v[52:53]
	v_add_co_u32 v0, vcc_lo, s44, v0
	s_delay_alu instid0(VALU_DEP_4) | instskip(NEXT) | instid1(VALU_DEP_3)
	v_add_co_ci_u32_e32 v1, vcc_lo, s45, v1, vcc_lo
	v_add_co_u32 v2, vcc_lo, s44, v2
	s_delay_alu instid0(VALU_DEP_4)
	v_add_co_ci_u32_e32 v3, vcc_lo, s45, v3, vcc_lo
	s_clause 0x1
	global_load_b32 v0, v[0:1], off
	global_load_b32 v1, v[2:3], off
	s_waitcnt vmcnt(0)
	v_sub_nc_u32_e32 v41, v0, v1
	s_cbranch_execz .LBB1_24
; %bb.22:                               ;   in Loop: Header=BB1_20 Depth=2
	s_mov_b32 s59, exec_lo
	s_delay_alu instid0(VALU_DEP_1)
	v_cmpx_ge_i32_e64 v41, v42
	s_cbranch_execz .LBB1_19
	s_branch .LBB1_31
.LBB1_23:                               ;   in Loop: Header=BB1_20 Depth=2
                                        ; implicit-def: $vgpr41
.LBB1_24:                               ;   in Loop: Header=BB1_20 Depth=2
                                        ; implicit-def: $vgpr41
	s_and_saveexec_b32 s0, s28
	s_delay_alu instid0(SALU_CYCLE_1)
	s_xor_b32 s0, exec_lo, s0
	s_cbranch_execz .LBB1_28
; %bb.25:                               ;   in Loop: Header=BB1_20 Depth=2
	global_load_b64 v[0:1], v[76:77], off offset:-4
	s_mov_b32 s1, exec_lo
	s_waitcnt vmcnt(0)
	v_sub_nc_u32_e32 v52, v1, v82
	s_delay_alu instid0(VALU_DEP_1) | instskip(NEXT) | instid1(VALU_DEP_1)
	v_lshlrev_b64 v[1:2], 2, v[52:53]
	v_add_co_u32 v1, vcc_lo, s44, v1
	s_delay_alu instid0(VALU_DEP_2)
	v_add_co_ci_u32_e32 v2, vcc_lo, s45, v2, vcc_lo
	global_load_b32 v41, v[1:2], off
	v_cmpx_ne_u32_e32 0, v0
	s_cbranch_execz .LBB1_27
; %bb.26:                               ;   in Loop: Header=BB1_20 Depth=2
	v_add_nc_u32_e32 v52, -1, v0
	s_delay_alu instid0(VALU_DEP_1) | instskip(NEXT) | instid1(VALU_DEP_1)
	v_lshlrev_b64 v[0:1], 2, v[52:53]
	v_add_co_u32 v0, vcc_lo, s44, v0
	s_delay_alu instid0(VALU_DEP_2)
	v_add_co_ci_u32_e32 v1, vcc_lo, s45, v1, vcc_lo
	global_load_b32 v0, v[0:1], off
	s_waitcnt vmcnt(0)
	v_sub_nc_u32_e32 v41, v41, v0
.LBB1_27:                               ;   in Loop: Header=BB1_20 Depth=2
	s_or_b32 exec_lo, exec_lo, s1
.LBB1_28:                               ;   in Loop: Header=BB1_20 Depth=2
	s_and_not1_saveexec_b32 s0, s0
	s_cbranch_execz .LBB1_30
; %bb.29:                               ;   in Loop: Header=BB1_20 Depth=2
	global_load_b32 v0, v53, s[46:47]
	s_waitcnt vmcnt(0)
	v_sub_nc_u32_e32 v52, v0, v82
	s_delay_alu instid0(VALU_DEP_1) | instskip(NEXT) | instid1(VALU_DEP_1)
	v_lshlrev_b64 v[0:1], 2, v[52:53]
	v_add_co_u32 v0, vcc_lo, s44, v0
	s_delay_alu instid0(VALU_DEP_2)
	v_add_co_ci_u32_e32 v1, vcc_lo, s45, v1, vcc_lo
	global_load_b32 v41, v[0:1], off
.LBB1_30:                               ;   in Loop: Header=BB1_20 Depth=2
	s_or_b32 exec_lo, exec_lo, s0
	s_delay_alu instid0(SALU_CYCLE_1)
	s_mov_b32 s59, exec_lo
	s_waitcnt vmcnt(0)
	v_cmpx_ge_i32_e64 v41, v42
	s_cbranch_execz .LBB1_19
.LBB1_31:                               ;   in Loop: Header=BB1_20 Depth=2
	v_sub_nc_u32_e32 v99, v41, v42
	s_mov_b32 s60, exec_lo
	s_delay_alu instid0(VALU_DEP_1)
	v_cmpx_lt_i32_e64 v70, v99
	s_cbranch_execz .LBB1_18
; %bb.32:                               ;   in Loop: Header=BB1_20 Depth=2
	v_add_co_u32 v100, vcc_lo, v46, v40
	v_add_co_ci_u32_e32 v101, vcc_lo, 0, v47, vcc_lo
	v_add_co_u32 v102, vcc_lo, v60, v40
	v_add_co_ci_u32_e32 v103, vcc_lo, 0, v61, vcc_lo
	v_mov_b32_e32 v104, v70
	s_mov_b32 s61, 0
	s_branch .LBB1_34
.LBB1_33:                               ;   in Loop: Header=BB1_34 Depth=3
	s_or_b32 exec_lo, exec_lo, s1
	v_add_nc_u32_e32 v104, 32, v104
	s_delay_alu instid0(VALU_DEP_1) | instskip(SKIP_1) | instid1(SALU_CYCLE_1)
	v_cmp_ge_i32_e32 vcc_lo, v104, v99
	s_or_b32 s61, vcc_lo, s61
	s_and_not1_b32 exec_lo, exec_lo, s61
	s_cbranch_execz .LBB1_18
.LBB1_34:                               ;   Parent Loop BB1_13 Depth=1
                                        ;     Parent Loop BB1_20 Depth=2
                                        ; =>    This Loop Header: Depth=3
                                        ;         Child Loop BB1_38 Depth 4
                                        ;         Child Loop BB1_46 Depth 4
	;; [unrolled: 1-line block ×9, first 2 shown]
                                        ;           Child Loop BB1_67 Depth 5
                                        ;           Child Loop BB1_74 Depth 5
	;; [unrolled: 1-line block ×11, first 2 shown]
	s_delay_alu instid0(VALU_DEP_1)
	v_add_co_u32 v2, vcc_lo, v100, v104
	v_add_co_ci_u32_e32 v3, vcc_lo, 0, v101, vcc_lo
	v_dual_mov_b32 v0, v43 :: v_dual_mov_b32 v1, v44
	v_dual_mov_b32 v4, v42 :: v_dual_mov_b32 v5, v45
	s_add_u32 s8, s26, 0xb0
	s_addc_u32 s9, s27, 0
	s_getpc_b64 s[0:1]
	s_add_u32 s0, s0, _Z13ht_get_atomicP6loc_ht9cstr_typej@rel32@lo+4
	s_addc_u32 s1, s1, _Z13ht_get_atomicP6loc_ht9cstr_typej@rel32@hi+12
	s_delay_alu instid0(SALU_CYCLE_1) | instskip(SKIP_2) | instid1(VALU_DEP_1)
	s_swappc_b64 s[30:31], s[0:1]
	v_add_nc_u32_e32 v26, v104, v42
	s_mov_b32 s14, exec_lo
	v_cmpx_ge_i32_e64 v26, v41
	s_cbranch_execz .LBB1_167
; %bb.35:                               ;   in Loop: Header=BB1_34 Depth=3
	s_load_b64 s[2:3], s[52:53], 0x50
	v_readfirstlane_b32 s0, v91
	v_mov_b32_e32 v6, 0
	v_mov_b32_e32 v7, 0
	s_delay_alu instid0(VALU_DEP_3) | instskip(NEXT) | instid1(VALU_DEP_1)
	v_cmp_eq_u32_e64 s0, s0, v91
	s_and_saveexec_b32 s1, s0
	s_cbranch_execz .LBB1_41
; %bb.36:                               ;   in Loop: Header=BB1_34 Depth=3
	s_waitcnt lgkmcnt(0)
	global_load_b64 v[4:5], v53, s[2:3] offset:24 glc
	s_waitcnt vmcnt(0)
	buffer_gl1_inv
	buffer_gl0_inv
	s_clause 0x1
	global_load_b64 v[2:3], v53, s[2:3] offset:40
	global_load_b64 v[6:7], v53, s[2:3]
	s_mov_b32 s4, exec_lo
	s_waitcnt vmcnt(1)
	v_and_b32_e32 v3, v3, v5
	v_and_b32_e32 v2, v2, v4
	s_delay_alu instid0(VALU_DEP_2) | instskip(NEXT) | instid1(VALU_DEP_2)
	v_mul_lo_u32 v3, v3, 24
	v_mul_hi_u32 v8, v2, 24
	v_mul_lo_u32 v2, v2, 24
	s_delay_alu instid0(VALU_DEP_2) | instskip(SKIP_1) | instid1(VALU_DEP_2)
	v_add_nc_u32_e32 v3, v8, v3
	s_waitcnt vmcnt(0)
	v_add_co_u32 v2, vcc_lo, v6, v2
	s_delay_alu instid0(VALU_DEP_2)
	v_add_co_ci_u32_e32 v3, vcc_lo, v7, v3, vcc_lo
	global_load_b64 v[2:3], v[2:3], off glc
	s_waitcnt vmcnt(0)
	global_atomic_cmpswap_b64 v[6:7], v53, v[2:5], s[2:3] offset:24 glc
	s_waitcnt vmcnt(0)
	buffer_gl1_inv
	buffer_gl0_inv
	v_cmpx_ne_u64_e64 v[6:7], v[4:5]
	s_cbranch_execz .LBB1_40
; %bb.37:                               ;   in Loop: Header=BB1_34 Depth=3
	s_mov_b32 s5, 0
	.p2align	6
.LBB1_38:                               ;   Parent Loop BB1_13 Depth=1
                                        ;     Parent Loop BB1_20 Depth=2
                                        ;       Parent Loop BB1_34 Depth=3
                                        ; =>      This Inner Loop Header: Depth=4
	s_sleep 1
	s_clause 0x1
	global_load_b64 v[2:3], v53, s[2:3] offset:40
	global_load_b64 v[8:9], v53, s[2:3]
	v_dual_mov_b32 v4, v6 :: v_dual_mov_b32 v5, v7
	s_waitcnt vmcnt(1)
	s_delay_alu instid0(VALU_DEP_1) | instskip(NEXT) | instid1(VALU_DEP_2)
	v_and_b32_e32 v2, v2, v4
	v_and_b32_e32 v3, v3, v5
	s_waitcnt vmcnt(0)
	s_delay_alu instid0(VALU_DEP_2) | instskip(NEXT) | instid1(VALU_DEP_1)
	v_mad_u64_u32 v[6:7], null, v2, 24, v[8:9]
	v_mov_b32_e32 v2, v7
	s_delay_alu instid0(VALU_DEP_1)
	v_mad_u64_u32 v[7:8], null, v3, 24, v[2:3]
	global_load_b64 v[2:3], v[6:7], off glc
	s_waitcnt vmcnt(0)
	global_atomic_cmpswap_b64 v[6:7], v53, v[2:5], s[2:3] offset:24 glc
	s_waitcnt vmcnt(0)
	buffer_gl1_inv
	buffer_gl0_inv
	v_cmp_eq_u64_e32 vcc_lo, v[6:7], v[4:5]
	s_or_b32 s5, vcc_lo, s5
	s_delay_alu instid0(SALU_CYCLE_1)
	s_and_not1_b32 exec_lo, exec_lo, s5
	s_cbranch_execnz .LBB1_38
; %bb.39:                               ;   in Loop: Header=BB1_34 Depth=3
	s_or_b32 exec_lo, exec_lo, s5
.LBB1_40:                               ;   in Loop: Header=BB1_34 Depth=3
	s_delay_alu instid0(SALU_CYCLE_1)
	s_or_b32 exec_lo, exec_lo, s4
.LBB1_41:                               ;   in Loop: Header=BB1_34 Depth=3
	s_delay_alu instid0(SALU_CYCLE_1)
	s_or_b32 exec_lo, exec_lo, s1
	s_waitcnt lgkmcnt(0)
	s_clause 0x1
	global_load_b64 v[8:9], v53, s[2:3] offset:40
	global_load_b128 v[2:5], v53, s[2:3]
	v_readfirstlane_b32 s4, v6
	v_readfirstlane_b32 s5, v7
	s_mov_b32 s1, exec_lo
	s_waitcnt vmcnt(1)
	v_readfirstlane_b32 s6, v8
	v_readfirstlane_b32 s7, v9
	s_delay_alu instid0(VALU_DEP_1) | instskip(NEXT) | instid1(SALU_CYCLE_1)
	s_and_b64 s[6:7], s[4:5], s[6:7]
	s_mul_i32 s8, s7, 24
	s_mul_hi_u32 s9, s6, 24
	s_mul_i32 s10, s6, 24
	s_add_i32 s9, s9, s8
	s_waitcnt vmcnt(0)
	v_add_co_u32 v6, vcc_lo, v2, s10
	v_add_co_ci_u32_e32 v7, vcc_lo, s9, v3, vcc_lo
	s_and_saveexec_b32 s8, s0
	s_cbranch_execz .LBB1_43
; %bb.42:                               ;   in Loop: Header=BB1_34 Depth=3
	v_mov_b32_e32 v52, s1
	global_store_b128 v[6:7], v[52:55], off offset:8
.LBB1_43:                               ;   in Loop: Header=BB1_34 Depth=3
	s_or_b32 exec_lo, exec_lo, s8
	s_lshl_b64 s[6:7], s[6:7], 12
	s_mov_b32 s37, s36
	v_add_co_u32 v10, vcc_lo, v4, s6
	v_add_co_ci_u32_e32 v11, vcc_lo, s7, v5, vcc_lo
	s_mov_b32 s38, s36
	s_mov_b32 s39, s36
	v_dual_mov_b32 v58, v53 :: v_dual_lshlrev_b32 v27, 6, v91
	v_dual_mov_b32 v57, v53 :: v_dual_mov_b32 v12, s36
	v_dual_mov_b32 v59, v53 :: v_dual_mov_b32 v14, s38
	v_readfirstlane_b32 s6, v10
	v_readfirstlane_b32 s7, v11
	v_mov_b32_e32 v13, s37
	v_mov_b32_e32 v15, s39
	s_clause 0x3
	global_store_b128 v27, v[56:59], s[6:7]
	global_store_b128 v27, v[12:15], s[6:7] offset:16
	global_store_b128 v27, v[12:15], s[6:7] offset:32
	;; [unrolled: 1-line block ×3, first 2 shown]
	s_and_saveexec_b32 s1, s0
	s_cbranch_execz .LBB1_51
; %bb.44:                               ;   in Loop: Header=BB1_34 Depth=3
	s_clause 0x1
	global_load_b64 v[14:15], v53, s[2:3] offset:32 glc
	global_load_b64 v[4:5], v53, s[2:3] offset:40
	s_mov_b32 s6, exec_lo
	v_dual_mov_b32 v12, s4 :: v_dual_mov_b32 v13, s5
	s_waitcnt vmcnt(0)
	v_and_b32_e32 v5, s5, v5
	v_and_b32_e32 v4, s4, v4
	s_delay_alu instid0(VALU_DEP_2) | instskip(NEXT) | instid1(VALU_DEP_2)
	v_mul_lo_u32 v5, v5, 24
	v_mul_hi_u32 v8, v4, 24
	v_mul_lo_u32 v4, v4, 24
	s_delay_alu instid0(VALU_DEP_2) | instskip(NEXT) | instid1(VALU_DEP_2)
	v_add_nc_u32_e32 v5, v8, v5
	v_add_co_u32 v8, vcc_lo, v2, v4
	s_delay_alu instid0(VALU_DEP_2)
	v_add_co_ci_u32_e32 v9, vcc_lo, v3, v5, vcc_lo
	global_store_b64 v[8:9], v[14:15], off
	s_waitcnt_vscnt null, 0x0
	global_atomic_cmpswap_b64 v[4:5], v53, v[12:15], s[2:3] offset:32 glc
	s_waitcnt vmcnt(0)
	v_cmpx_ne_u64_e64 v[4:5], v[14:15]
	s_cbranch_execz .LBB1_47
; %bb.45:                               ;   in Loop: Header=BB1_34 Depth=3
	s_mov_b32 s7, 0
.LBB1_46:                               ;   Parent Loop BB1_13 Depth=1
                                        ;     Parent Loop BB1_20 Depth=2
                                        ;       Parent Loop BB1_34 Depth=3
                                        ; =>      This Inner Loop Header: Depth=4
	v_dual_mov_b32 v2, s4 :: v_dual_mov_b32 v3, s5
	s_sleep 1
	global_store_b64 v[8:9], v[4:5], off
	s_waitcnt_vscnt null, 0x0
	global_atomic_cmpswap_b64 v[2:3], v53, v[2:5], s[2:3] offset:32 glc
	s_waitcnt vmcnt(0)
	v_cmp_eq_u64_e32 vcc_lo, v[2:3], v[4:5]
	v_dual_mov_b32 v5, v3 :: v_dual_mov_b32 v4, v2
	s_or_b32 s7, vcc_lo, s7
	s_delay_alu instid0(SALU_CYCLE_1)
	s_and_not1_b32 exec_lo, exec_lo, s7
	s_cbranch_execnz .LBB1_46
.LBB1_47:                               ;   in Loop: Header=BB1_34 Depth=3
	s_or_b32 exec_lo, exec_lo, s6
	global_load_b64 v[2:3], v53, s[2:3] offset:16
	s_mov_b32 s7, exec_lo
	s_mov_b32 s6, exec_lo
	v_mbcnt_lo_u32_b32 v4, s7, 0
	s_delay_alu instid0(VALU_DEP_1)
	v_cmpx_eq_u32_e32 0, v4
	s_cbranch_execz .LBB1_49
; %bb.48:                               ;   in Loop: Header=BB1_34 Depth=3
	s_bcnt1_i32_b32 s7, s7
	s_delay_alu instid0(SALU_CYCLE_1)
	v_mov_b32_e32 v52, s7
	s_waitcnt vmcnt(0)
	global_atomic_add_u64 v[2:3], v[52:53], off offset:8
.LBB1_49:                               ;   in Loop: Header=BB1_34 Depth=3
	s_or_b32 exec_lo, exec_lo, s6
	s_waitcnt vmcnt(0)
	global_load_b64 v[4:5], v[2:3], off offset:16
	s_waitcnt vmcnt(0)
	v_cmp_eq_u64_e32 vcc_lo, 0, v[4:5]
	s_cbranch_vccnz .LBB1_51
; %bb.50:                               ;   in Loop: Header=BB1_34 Depth=3
	global_load_b32 v52, v[2:3], off offset:24
	s_waitcnt vmcnt(0)
	v_and_b32_e32 v2, 0xffffff, v52
	s_waitcnt_vscnt null, 0x0
	global_store_b64 v[4:5], v[52:53], off
	v_readfirstlane_b32 m0, v2
	s_sendmsg sendmsg(MSG_INTERRUPT)
.LBB1_51:                               ;   in Loop: Header=BB1_34 Depth=3
	s_or_b32 exec_lo, exec_lo, s1
	v_add_co_u32 v2, vcc_lo, v10, v27
	v_add_co_ci_u32_e32 v3, vcc_lo, 0, v11, vcc_lo
	s_branch .LBB1_55
	.p2align	6
.LBB1_52:                               ;   in Loop: Header=BB1_55 Depth=4
	s_or_b32 exec_lo, exec_lo, s1
	s_delay_alu instid0(VALU_DEP_1) | instskip(NEXT) | instid1(VALU_DEP_1)
	v_readfirstlane_b32 s1, v4
	s_cmp_eq_u32 s1, 0
	s_cbranch_scc1 .LBB1_54
; %bb.53:                               ;   in Loop: Header=BB1_55 Depth=4
	s_sleep 1
	s_cbranch_execnz .LBB1_55
	s_branch .LBB1_57
	.p2align	6
.LBB1_54:                               ;   in Loop: Header=BB1_34 Depth=3
	s_branch .LBB1_57
.LBB1_55:                               ;   Parent Loop BB1_13 Depth=1
                                        ;     Parent Loop BB1_20 Depth=2
                                        ;       Parent Loop BB1_34 Depth=3
                                        ; =>      This Inner Loop Header: Depth=4
	v_mov_b32_e32 v4, 1
	s_and_saveexec_b32 s1, s0
	s_cbranch_execz .LBB1_52
; %bb.56:                               ;   in Loop: Header=BB1_55 Depth=4
	global_load_b32 v4, v[6:7], off offset:20 glc
	s_waitcnt vmcnt(0)
	buffer_gl1_inv
	buffer_gl0_inv
	v_and_b32_e32 v4, 1, v4
	s_branch .LBB1_52
.LBB1_57:                               ;   in Loop: Header=BB1_34 Depth=3
	global_load_b64 v[2:3], v[2:3], off
	s_and_saveexec_b32 s1, s0
	s_cbranch_execz .LBB1_61
; %bb.58:                               ;   in Loop: Header=BB1_34 Depth=3
	s_clause 0x2
	global_load_b64 v[6:7], v53, s[2:3] offset:40
	global_load_b64 v[10:11], v53, s[2:3] offset:24 glc
	global_load_b64 v[8:9], v53, s[2:3]
	s_waitcnt vmcnt(2)
	v_add_co_u32 v12, vcc_lo, v6, 1
	v_add_co_ci_u32_e32 v13, vcc_lo, 0, v7, vcc_lo
	s_delay_alu instid0(VALU_DEP_2) | instskip(NEXT) | instid1(VALU_DEP_2)
	v_add_co_u32 v4, vcc_lo, v12, s4
	v_add_co_ci_u32_e32 v5, vcc_lo, s5, v13, vcc_lo
	s_delay_alu instid0(VALU_DEP_1) | instskip(SKIP_1) | instid1(VALU_DEP_1)
	v_cmp_eq_u64_e32 vcc_lo, 0, v[4:5]
	v_dual_cndmask_b32 v5, v5, v13 :: v_dual_cndmask_b32 v4, v4, v12
	v_and_b32_e32 v7, v5, v7
	s_delay_alu instid0(VALU_DEP_2) | instskip(NEXT) | instid1(VALU_DEP_1)
	v_and_b32_e32 v6, v4, v6
	v_mul_hi_u32 v12, v6, 24
	v_mul_lo_u32 v6, v6, 24
	s_waitcnt vmcnt(0)
	s_delay_alu instid0(VALU_DEP_1) | instskip(SKIP_2) | instid1(VALU_DEP_1)
	v_add_co_u32 v8, vcc_lo, v8, v6
	v_mov_b32_e32 v6, v10
	v_mul_lo_u32 v7, v7, 24
	v_add_nc_u32_e32 v7, v12, v7
	s_delay_alu instid0(VALU_DEP_1)
	v_add_co_ci_u32_e32 v9, vcc_lo, v9, v7, vcc_lo
	v_mov_b32_e32 v7, v11
	global_store_b64 v[8:9], v[10:11], off
	s_waitcnt_vscnt null, 0x0
	global_atomic_cmpswap_b64 v[6:7], v53, v[4:7], s[2:3] offset:24 glc
	s_waitcnt vmcnt(0)
	v_cmp_ne_u64_e32 vcc_lo, v[6:7], v[10:11]
	s_and_b32 exec_lo, exec_lo, vcc_lo
	s_cbranch_execz .LBB1_61
; %bb.59:                               ;   in Loop: Header=BB1_34 Depth=3
	s_mov_b32 s0, 0
.LBB1_60:                               ;   Parent Loop BB1_13 Depth=1
                                        ;     Parent Loop BB1_20 Depth=2
                                        ;       Parent Loop BB1_34 Depth=3
                                        ; =>      This Inner Loop Header: Depth=4
	s_sleep 1
	global_store_b64 v[8:9], v[6:7], off
	s_waitcnt_vscnt null, 0x0
	global_atomic_cmpswap_b64 v[10:11], v53, v[4:7], s[2:3] offset:24 glc
	s_waitcnt vmcnt(0)
	v_cmp_eq_u64_e32 vcc_lo, v[10:11], v[6:7]
	v_dual_mov_b32 v6, v10 :: v_dual_mov_b32 v7, v11
	s_or_b32 s0, vcc_lo, s0
	s_delay_alu instid0(SALU_CYCLE_1)
	s_and_not1_b32 exec_lo, exec_lo, s0
	s_cbranch_execnz .LBB1_60
.LBB1_61:                               ;   in Loop: Header=BB1_34 Depth=3
	s_or_b32 exec_lo, exec_lo, s1
	s_delay_alu instid0(SALU_CYCLE_1)
	s_and_b32 vcc_lo, exec_lo, s41
	s_cbranch_vccz .LBB1_140
; %bb.62:                               ;   in Loop: Header=BB1_34 Depth=3
	s_waitcnt vmcnt(0)
	v_dual_mov_b32 v5, v3 :: v_dual_and_b32 v4, -3, v2
	s_mov_b64 s[6:7], 45
	s_getpc_b64 s[4:5]
	s_add_u32 s4, s4, .str.3@rel32@lo+4
	s_addc_u32 s5, s5, .str.3@rel32@hi+12
	s_branch .LBB1_64
.LBB1_63:                               ;   in Loop: Header=BB1_64 Depth=4
	s_or_b32 exec_lo, exec_lo, s1
	s_sub_u32 s6, s6, s8
	s_subb_u32 s7, s7, s9
	s_add_u32 s4, s4, s8
	s_addc_u32 s5, s5, s9
	s_cmp_lg_u64 s[6:7], 0
	s_cbranch_scc0 .LBB1_139
.LBB1_64:                               ;   Parent Loop BB1_13 Depth=1
                                        ;     Parent Loop BB1_20 Depth=2
                                        ;       Parent Loop BB1_34 Depth=3
                                        ; =>      This Loop Header: Depth=4
                                        ;           Child Loop BB1_67 Depth 5
                                        ;           Child Loop BB1_74 Depth 5
	;; [unrolled: 1-line block ×11, first 2 shown]
	v_cmp_lt_u64_e64 s0, s[6:7], 56
	v_cmp_gt_u64_e64 s1, s[6:7], 7
	s_delay_alu instid0(VALU_DEP_2) | instskip(SKIP_2) | instid1(VALU_DEP_1)
	s_and_b32 s0, s0, exec_lo
	s_cselect_b32 s9, s7, 0
	s_cselect_b32 s8, s6, 56
	s_and_b32 vcc_lo, exec_lo, s1
	s_cbranch_vccnz .LBB1_69
; %bb.65:                               ;   in Loop: Header=BB1_64 Depth=4
	s_waitcnt vmcnt(0)
	v_mov_b32_e32 v6, 0
	v_mov_b32_e32 v7, 0
	s_cmp_eq_u64 s[6:7], 0
	s_mov_b64 s[0:1], 0
	s_cbranch_scc1 .LBB1_68
; %bb.66:                               ;   in Loop: Header=BB1_64 Depth=4
	v_mov_b32_e32 v6, 0
	v_mov_b32_e32 v7, 0
	s_lshl_b64 s[10:11], s[8:9], 3
	s_mov_b64 s[12:13], s[4:5]
.LBB1_67:                               ;   Parent Loop BB1_13 Depth=1
                                        ;     Parent Loop BB1_20 Depth=2
                                        ;       Parent Loop BB1_34 Depth=3
                                        ;         Parent Loop BB1_64 Depth=4
                                        ; =>        This Inner Loop Header: Depth=5
	global_load_u8 v8, v53, s[12:13]
	s_waitcnt vmcnt(0)
	v_and_b32_e32 v52, 0xffff, v8
	s_delay_alu instid0(VALU_DEP_1)
	v_lshlrev_b64 v[8:9], s0, v[52:53]
	s_add_u32 s0, s0, 8
	s_addc_u32 s1, s1, 0
	s_add_u32 s12, s12, 1
	s_addc_u32 s13, s13, 0
	s_cmp_lg_u32 s10, s0
	v_or_b32_e32 v6, v8, v6
	v_or_b32_e32 v7, v9, v7
	s_cbranch_scc1 .LBB1_67
.LBB1_68:                               ;   in Loop: Header=BB1_64 Depth=4
	s_mov_b32 s15, 0
	s_mov_b64 s[0:1], s[4:5]
	s_cbranch_execz .LBB1_70
	s_branch .LBB1_71
.LBB1_69:                               ;   in Loop: Header=BB1_64 Depth=4
                                        ; implicit-def: $sgpr15
	s_mov_b64 s[0:1], s[4:5]
.LBB1_70:                               ;   in Loop: Header=BB1_64 Depth=4
	global_load_b64 v[6:7], v53, s[4:5]
	s_add_i32 s15, s8, -8
	s_add_u32 s0, s4, 8
	s_addc_u32 s1, s5, 0
.LBB1_71:                               ;   in Loop: Header=BB1_64 Depth=4
	s_cmp_gt_u32 s15, 7
	s_cbranch_scc1 .LBB1_76
; %bb.72:                               ;   in Loop: Header=BB1_64 Depth=4
	v_mov_b32_e32 v8, 0
	v_mov_b32_e32 v9, 0
	s_cmp_eq_u32 s15, 0
	s_cbranch_scc1 .LBB1_75
; %bb.73:                               ;   in Loop: Header=BB1_64 Depth=4
	s_mov_b64 s[10:11], 0
	s_mov_b64 s[12:13], 0
.LBB1_74:                               ;   Parent Loop BB1_13 Depth=1
                                        ;     Parent Loop BB1_20 Depth=2
                                        ;       Parent Loop BB1_34 Depth=3
                                        ;         Parent Loop BB1_64 Depth=4
                                        ; =>        This Inner Loop Header: Depth=5
	s_delay_alu instid0(SALU_CYCLE_1)
	s_add_u32 s16, s0, s12
	s_addc_u32 s17, s1, s13
	s_add_u32 s12, s12, 1
	global_load_u8 v10, v53, s[16:17]
	s_addc_u32 s13, s13, 0
	s_waitcnt vmcnt(0)
	v_and_b32_e32 v52, 0xffff, v10
	s_delay_alu instid0(VALU_DEP_1) | instskip(SKIP_3) | instid1(VALU_DEP_1)
	v_lshlrev_b64 v[10:11], s10, v[52:53]
	s_add_u32 s10, s10, 8
	s_addc_u32 s11, s11, 0
	s_cmp_lg_u32 s15, s12
	v_or_b32_e32 v8, v10, v8
	s_delay_alu instid0(VALU_DEP_2)
	v_or_b32_e32 v9, v11, v9
	s_cbranch_scc1 .LBB1_74
.LBB1_75:                               ;   in Loop: Header=BB1_64 Depth=4
	s_mov_b32 s16, 0
	s_cbranch_execz .LBB1_77
	s_branch .LBB1_78
.LBB1_76:                               ;   in Loop: Header=BB1_64 Depth=4
                                        ; implicit-def: $vgpr8_vgpr9
                                        ; implicit-def: $sgpr16
.LBB1_77:                               ;   in Loop: Header=BB1_64 Depth=4
	global_load_b64 v[8:9], v53, s[0:1]
	s_add_i32 s16, s15, -8
	s_add_u32 s0, s0, 8
	s_addc_u32 s1, s1, 0
.LBB1_78:                               ;   in Loop: Header=BB1_64 Depth=4
	s_cmp_gt_u32 s16, 7
	s_cbranch_scc1 .LBB1_83
; %bb.79:                               ;   in Loop: Header=BB1_64 Depth=4
	v_mov_b32_e32 v10, 0
	v_mov_b32_e32 v11, 0
	s_cmp_eq_u32 s16, 0
	s_cbranch_scc1 .LBB1_82
; %bb.80:                               ;   in Loop: Header=BB1_64 Depth=4
	s_mov_b64 s[10:11], 0
	s_mov_b64 s[12:13], 0
.LBB1_81:                               ;   Parent Loop BB1_13 Depth=1
                                        ;     Parent Loop BB1_20 Depth=2
                                        ;       Parent Loop BB1_34 Depth=3
                                        ;         Parent Loop BB1_64 Depth=4
                                        ; =>        This Inner Loop Header: Depth=5
	s_delay_alu instid0(SALU_CYCLE_1)
	s_add_u32 s18, s0, s12
	s_addc_u32 s19, s1, s13
	s_add_u32 s12, s12, 1
	global_load_u8 v12, v53, s[18:19]
	s_addc_u32 s13, s13, 0
	s_waitcnt vmcnt(0)
	v_and_b32_e32 v52, 0xffff, v12
	s_delay_alu instid0(VALU_DEP_1) | instskip(SKIP_3) | instid1(VALU_DEP_1)
	v_lshlrev_b64 v[12:13], s10, v[52:53]
	s_add_u32 s10, s10, 8
	s_addc_u32 s11, s11, 0
	s_cmp_lg_u32 s16, s12
	v_or_b32_e32 v10, v12, v10
	s_delay_alu instid0(VALU_DEP_2)
	v_or_b32_e32 v11, v13, v11
	s_cbranch_scc1 .LBB1_81
.LBB1_82:                               ;   in Loop: Header=BB1_64 Depth=4
	s_mov_b32 s15, 0
	s_cbranch_execz .LBB1_84
	s_branch .LBB1_85
.LBB1_83:                               ;   in Loop: Header=BB1_64 Depth=4
                                        ; implicit-def: $sgpr15
.LBB1_84:                               ;   in Loop: Header=BB1_64 Depth=4
	global_load_b64 v[10:11], v53, s[0:1]
	s_add_i32 s15, s16, -8
	s_add_u32 s0, s0, 8
	s_addc_u32 s1, s1, 0
.LBB1_85:                               ;   in Loop: Header=BB1_64 Depth=4
	s_cmp_gt_u32 s15, 7
	s_cbranch_scc1 .LBB1_90
; %bb.86:                               ;   in Loop: Header=BB1_64 Depth=4
	v_mov_b32_e32 v12, 0
	v_mov_b32_e32 v13, 0
	s_cmp_eq_u32 s15, 0
	s_cbranch_scc1 .LBB1_89
; %bb.87:                               ;   in Loop: Header=BB1_64 Depth=4
	s_mov_b64 s[10:11], 0
	s_mov_b64 s[12:13], 0
.LBB1_88:                               ;   Parent Loop BB1_13 Depth=1
                                        ;     Parent Loop BB1_20 Depth=2
                                        ;       Parent Loop BB1_34 Depth=3
                                        ;         Parent Loop BB1_64 Depth=4
                                        ; =>        This Inner Loop Header: Depth=5
	s_delay_alu instid0(SALU_CYCLE_1)
	s_add_u32 s16, s0, s12
	s_addc_u32 s17, s1, s13
	s_add_u32 s12, s12, 1
	global_load_u8 v14, v53, s[16:17]
	s_addc_u32 s13, s13, 0
	s_waitcnt vmcnt(0)
	v_and_b32_e32 v52, 0xffff, v14
	s_delay_alu instid0(VALU_DEP_1) | instskip(SKIP_3) | instid1(VALU_DEP_1)
	v_lshlrev_b64 v[14:15], s10, v[52:53]
	s_add_u32 s10, s10, 8
	s_addc_u32 s11, s11, 0
	s_cmp_lg_u32 s15, s12
	v_or_b32_e32 v12, v14, v12
	s_delay_alu instid0(VALU_DEP_2)
	v_or_b32_e32 v13, v15, v13
	s_cbranch_scc1 .LBB1_88
.LBB1_89:                               ;   in Loop: Header=BB1_64 Depth=4
	s_mov_b32 s16, 0
	s_cbranch_execz .LBB1_91
	s_branch .LBB1_92
.LBB1_90:                               ;   in Loop: Header=BB1_64 Depth=4
                                        ; implicit-def: $vgpr12_vgpr13
                                        ; implicit-def: $sgpr16
.LBB1_91:                               ;   in Loop: Header=BB1_64 Depth=4
	global_load_b64 v[12:13], v53, s[0:1]
	s_add_i32 s16, s15, -8
	s_add_u32 s0, s0, 8
	s_addc_u32 s1, s1, 0
.LBB1_92:                               ;   in Loop: Header=BB1_64 Depth=4
	s_cmp_gt_u32 s16, 7
	s_cbranch_scc1 .LBB1_97
; %bb.93:                               ;   in Loop: Header=BB1_64 Depth=4
	v_mov_b32_e32 v14, 0
	v_mov_b32_e32 v15, 0
	s_cmp_eq_u32 s16, 0
	s_cbranch_scc1 .LBB1_96
; %bb.94:                               ;   in Loop: Header=BB1_64 Depth=4
	s_mov_b64 s[10:11], 0
	s_mov_b64 s[12:13], 0
.LBB1_95:                               ;   Parent Loop BB1_13 Depth=1
                                        ;     Parent Loop BB1_20 Depth=2
                                        ;       Parent Loop BB1_34 Depth=3
                                        ;         Parent Loop BB1_64 Depth=4
                                        ; =>        This Inner Loop Header: Depth=5
	s_delay_alu instid0(SALU_CYCLE_1)
	s_add_u32 s18, s0, s12
	s_addc_u32 s19, s1, s13
	s_add_u32 s12, s12, 1
	global_load_u8 v16, v53, s[18:19]
	s_addc_u32 s13, s13, 0
	s_waitcnt vmcnt(0)
	v_and_b32_e32 v52, 0xffff, v16
	s_delay_alu instid0(VALU_DEP_1) | instskip(SKIP_3) | instid1(VALU_DEP_1)
	v_lshlrev_b64 v[16:17], s10, v[52:53]
	s_add_u32 s10, s10, 8
	s_addc_u32 s11, s11, 0
	s_cmp_lg_u32 s16, s12
	v_or_b32_e32 v14, v16, v14
	s_delay_alu instid0(VALU_DEP_2)
	v_or_b32_e32 v15, v17, v15
	s_cbranch_scc1 .LBB1_95
.LBB1_96:                               ;   in Loop: Header=BB1_64 Depth=4
	s_mov_b32 s15, 0
	s_cbranch_execz .LBB1_98
	s_branch .LBB1_99
.LBB1_97:                               ;   in Loop: Header=BB1_64 Depth=4
                                        ; implicit-def: $sgpr15
.LBB1_98:                               ;   in Loop: Header=BB1_64 Depth=4
	global_load_b64 v[14:15], v53, s[0:1]
	s_add_i32 s15, s16, -8
	s_add_u32 s0, s0, 8
	s_addc_u32 s1, s1, 0
.LBB1_99:                               ;   in Loop: Header=BB1_64 Depth=4
	s_cmp_gt_u32 s15, 7
	s_cbranch_scc1 .LBB1_104
; %bb.100:                              ;   in Loop: Header=BB1_64 Depth=4
	v_mov_b32_e32 v16, 0
	v_mov_b32_e32 v17, 0
	s_cmp_eq_u32 s15, 0
	s_cbranch_scc1 .LBB1_103
; %bb.101:                              ;   in Loop: Header=BB1_64 Depth=4
	s_mov_b64 s[10:11], 0
	s_mov_b64 s[12:13], 0
.LBB1_102:                              ;   Parent Loop BB1_13 Depth=1
                                        ;     Parent Loop BB1_20 Depth=2
                                        ;       Parent Loop BB1_34 Depth=3
                                        ;         Parent Loop BB1_64 Depth=4
                                        ; =>        This Inner Loop Header: Depth=5
	s_delay_alu instid0(SALU_CYCLE_1)
	s_add_u32 s16, s0, s12
	s_addc_u32 s17, s1, s13
	s_add_u32 s12, s12, 1
	global_load_u8 v18, v53, s[16:17]
	s_addc_u32 s13, s13, 0
	s_waitcnt vmcnt(0)
	v_and_b32_e32 v52, 0xffff, v18
	s_delay_alu instid0(VALU_DEP_1) | instskip(SKIP_3) | instid1(VALU_DEP_1)
	v_lshlrev_b64 v[18:19], s10, v[52:53]
	s_add_u32 s10, s10, 8
	s_addc_u32 s11, s11, 0
	s_cmp_lg_u32 s15, s12
	v_or_b32_e32 v16, v18, v16
	s_delay_alu instid0(VALU_DEP_2)
	v_or_b32_e32 v17, v19, v17
	s_cbranch_scc1 .LBB1_102
.LBB1_103:                              ;   in Loop: Header=BB1_64 Depth=4
	s_mov_b32 s16, 0
	s_cbranch_execz .LBB1_105
	s_branch .LBB1_106
.LBB1_104:                              ;   in Loop: Header=BB1_64 Depth=4
                                        ; implicit-def: $vgpr16_vgpr17
                                        ; implicit-def: $sgpr16
.LBB1_105:                              ;   in Loop: Header=BB1_64 Depth=4
	global_load_b64 v[16:17], v53, s[0:1]
	s_add_i32 s16, s15, -8
	s_add_u32 s0, s0, 8
	s_addc_u32 s1, s1, 0
.LBB1_106:                              ;   in Loop: Header=BB1_64 Depth=4
	s_cmp_gt_u32 s16, 7
	s_cbranch_scc1 .LBB1_111
; %bb.107:                              ;   in Loop: Header=BB1_64 Depth=4
	v_mov_b32_e32 v18, 0
	v_mov_b32_e32 v19, 0
	s_cmp_eq_u32 s16, 0
	s_cbranch_scc1 .LBB1_110
; %bb.108:                              ;   in Loop: Header=BB1_64 Depth=4
	s_mov_b64 s[10:11], 0
	s_mov_b64 s[12:13], s[0:1]
.LBB1_109:                              ;   Parent Loop BB1_13 Depth=1
                                        ;     Parent Loop BB1_20 Depth=2
                                        ;       Parent Loop BB1_34 Depth=3
                                        ;         Parent Loop BB1_64 Depth=4
                                        ; =>        This Inner Loop Header: Depth=5
	global_load_u8 v20, v53, s[12:13]
	s_add_i32 s16, s16, -1
	s_waitcnt vmcnt(0)
	v_and_b32_e32 v52, 0xffff, v20
	s_delay_alu instid0(VALU_DEP_1)
	v_lshlrev_b64 v[20:21], s10, v[52:53]
	s_add_u32 s10, s10, 8
	s_addc_u32 s11, s11, 0
	s_add_u32 s12, s12, 1
	s_addc_u32 s13, s13, 0
	s_cmp_lg_u32 s16, 0
	v_or_b32_e32 v18, v20, v18
	v_or_b32_e32 v19, v21, v19
	s_cbranch_scc1 .LBB1_109
.LBB1_110:                              ;   in Loop: Header=BB1_64 Depth=4
	s_cbranch_execz .LBB1_112
	s_branch .LBB1_113
.LBB1_111:                              ;   in Loop: Header=BB1_64 Depth=4
.LBB1_112:                              ;   in Loop: Header=BB1_64 Depth=4
	global_load_b64 v[18:19], v53, s[0:1]
.LBB1_113:                              ;   in Loop: Header=BB1_64 Depth=4
	v_readfirstlane_b32 s0, v91
	v_mov_b32_e32 v24, 0
	v_mov_b32_e32 v25, 0
	s_delay_alu instid0(VALU_DEP_3) | instskip(NEXT) | instid1(VALU_DEP_1)
	v_cmp_eq_u32_e64 s0, s0, v91
	s_and_saveexec_b32 s1, s0
	s_cbranch_execz .LBB1_119
; %bb.114:                              ;   in Loop: Header=BB1_64 Depth=4
	global_load_b64 v[22:23], v53, s[2:3] offset:24 glc
	s_waitcnt vmcnt(0)
	buffer_gl1_inv
	buffer_gl0_inv
	s_clause 0x1
	global_load_b64 v[20:21], v53, s[2:3] offset:40
	global_load_b64 v[24:25], v53, s[2:3]
	s_mov_b32 s10, exec_lo
	s_waitcnt vmcnt(1)
	v_and_b32_e32 v21, v21, v23
	v_and_b32_e32 v20, v20, v22
	s_delay_alu instid0(VALU_DEP_2) | instskip(NEXT) | instid1(VALU_DEP_2)
	v_mul_lo_u32 v21, v21, 24
	v_mul_hi_u32 v28, v20, 24
	v_mul_lo_u32 v20, v20, 24
	s_delay_alu instid0(VALU_DEP_2) | instskip(SKIP_1) | instid1(VALU_DEP_2)
	v_add_nc_u32_e32 v21, v28, v21
	s_waitcnt vmcnt(0)
	v_add_co_u32 v20, vcc_lo, v24, v20
	s_delay_alu instid0(VALU_DEP_2)
	v_add_co_ci_u32_e32 v21, vcc_lo, v25, v21, vcc_lo
	global_load_b64 v[20:21], v[20:21], off glc
	s_waitcnt vmcnt(0)
	global_atomic_cmpswap_b64 v[24:25], v53, v[20:23], s[2:3] offset:24 glc
	s_waitcnt vmcnt(0)
	buffer_gl1_inv
	buffer_gl0_inv
	v_cmpx_ne_u64_e64 v[24:25], v[22:23]
	s_cbranch_execz .LBB1_118
; %bb.115:                              ;   in Loop: Header=BB1_64 Depth=4
	s_mov_b32 s11, 0
	.p2align	6
.LBB1_116:                              ;   Parent Loop BB1_13 Depth=1
                                        ;     Parent Loop BB1_20 Depth=2
                                        ;       Parent Loop BB1_34 Depth=3
                                        ;         Parent Loop BB1_64 Depth=4
                                        ; =>        This Inner Loop Header: Depth=5
	s_sleep 1
	s_clause 0x1
	global_load_b64 v[20:21], v53, s[2:3] offset:40
	global_load_b64 v[28:29], v53, s[2:3]
	v_dual_mov_b32 v22, v24 :: v_dual_mov_b32 v23, v25
	s_waitcnt vmcnt(1)
	s_delay_alu instid0(VALU_DEP_1) | instskip(NEXT) | instid1(VALU_DEP_2)
	v_and_b32_e32 v20, v20, v22
	v_and_b32_e32 v21, v21, v23
	s_waitcnt vmcnt(0)
	s_delay_alu instid0(VALU_DEP_2) | instskip(NEXT) | instid1(VALU_DEP_1)
	v_mad_u64_u32 v[24:25], null, v20, 24, v[28:29]
	v_mov_b32_e32 v20, v25
	s_delay_alu instid0(VALU_DEP_1) | instskip(NEXT) | instid1(VALU_DEP_1)
	v_mad_u64_u32 v[28:29], null, v21, 24, v[20:21]
	v_mov_b32_e32 v25, v28
	global_load_b64 v[20:21], v[24:25], off glc
	s_waitcnt vmcnt(0)
	global_atomic_cmpswap_b64 v[24:25], v53, v[20:23], s[2:3] offset:24 glc
	s_waitcnt vmcnt(0)
	buffer_gl1_inv
	buffer_gl0_inv
	v_cmp_eq_u64_e32 vcc_lo, v[24:25], v[22:23]
	s_or_b32 s11, vcc_lo, s11
	s_delay_alu instid0(SALU_CYCLE_1)
	s_and_not1_b32 exec_lo, exec_lo, s11
	s_cbranch_execnz .LBB1_116
; %bb.117:                              ;   in Loop: Header=BB1_64 Depth=4
	s_or_b32 exec_lo, exec_lo, s11
.LBB1_118:                              ;   in Loop: Header=BB1_64 Depth=4
	s_delay_alu instid0(SALU_CYCLE_1)
	s_or_b32 exec_lo, exec_lo, s10
.LBB1_119:                              ;   in Loop: Header=BB1_64 Depth=4
	s_delay_alu instid0(SALU_CYCLE_1)
	s_or_b32 exec_lo, exec_lo, s1
	s_clause 0x1
	global_load_b64 v[28:29], v53, s[2:3] offset:40
	global_load_b128 v[20:23], v53, s[2:3]
	v_readfirstlane_b32 s10, v24
	v_readfirstlane_b32 s11, v25
	s_mov_b32 s1, exec_lo
	s_waitcnt vmcnt(1)
	v_readfirstlane_b32 s12, v28
	v_readfirstlane_b32 s13, v29
	s_delay_alu instid0(VALU_DEP_1) | instskip(NEXT) | instid1(SALU_CYCLE_1)
	s_and_b64 s[12:13], s[10:11], s[12:13]
	s_mul_i32 s15, s13, 24
	s_mul_hi_u32 s16, s12, 24
	s_mul_i32 s17, s12, 24
	s_add_i32 s16, s16, s15
	s_waitcnt vmcnt(0)
	v_add_co_u32 v24, vcc_lo, v20, s17
	v_add_co_ci_u32_e32 v25, vcc_lo, s16, v21, vcc_lo
	s_and_saveexec_b32 s15, s0
	s_cbranch_execz .LBB1_121
; %bb.120:                              ;   in Loop: Header=BB1_64 Depth=4
	v_mov_b32_e32 v52, s1
	global_store_b128 v[24:25], v[52:55], off offset:8
.LBB1_121:                              ;   in Loop: Header=BB1_64 Depth=4
	s_or_b32 exec_lo, exec_lo, s15
	s_lshl_b64 s[12:13], s[12:13], 12
	v_or_b32_e32 v28, 2, v4
	v_add_co_u32 v22, vcc_lo, v22, s12
	v_add_co_ci_u32_e32 v23, vcc_lo, s13, v23, vcc_lo
	v_cmp_gt_u64_e64 vcc_lo, s[6:7], 56
	s_lshl_b32 s1, s8, 2
	s_delay_alu instid0(VALU_DEP_3) | instskip(SKIP_4) | instid1(VALU_DEP_1)
	v_readfirstlane_b32 s12, v22
	s_add_i32 s1, s1, 28
	v_readfirstlane_b32 s13, v23
	s_and_b32 s1, s1, 0x1e0
	v_cndmask_b32_e32 v4, v28, v4, vcc_lo
	v_and_or_b32 v4, 0xffffff1f, v4, s1
	s_clause 0x3
	global_store_b128 v27, v[4:7], s[12:13]
	global_store_b128 v27, v[8:11], s[12:13] offset:16
	global_store_b128 v27, v[12:15], s[12:13] offset:32
	;; [unrolled: 1-line block ×3, first 2 shown]
	s_and_saveexec_b32 s1, s0
	s_cbranch_execz .LBB1_129
; %bb.122:                              ;   in Loop: Header=BB1_64 Depth=4
	s_clause 0x1
	global_load_b64 v[12:13], v53, s[2:3] offset:32 glc
	global_load_b64 v[4:5], v53, s[2:3] offset:40
	v_dual_mov_b32 v10, s10 :: v_dual_mov_b32 v11, s11
	s_waitcnt vmcnt(0)
	v_readfirstlane_b32 s12, v4
	v_readfirstlane_b32 s13, v5
	s_delay_alu instid0(VALU_DEP_1) | instskip(NEXT) | instid1(SALU_CYCLE_1)
	s_and_b64 s[12:13], s[12:13], s[10:11]
	s_mul_i32 s13, s13, 24
	s_mul_hi_u32 s15, s12, 24
	s_mul_i32 s12, s12, 24
	s_add_i32 s15, s15, s13
	v_add_co_u32 v8, vcc_lo, v20, s12
	v_add_co_ci_u32_e32 v9, vcc_lo, s15, v21, vcc_lo
	s_mov_b32 s12, exec_lo
	global_store_b64 v[8:9], v[12:13], off
	s_waitcnt_vscnt null, 0x0
	global_atomic_cmpswap_b64 v[6:7], v53, v[10:13], s[2:3] offset:32 glc
	s_waitcnt vmcnt(0)
	v_cmpx_ne_u64_e64 v[6:7], v[12:13]
	s_cbranch_execz .LBB1_125
; %bb.123:                              ;   in Loop: Header=BB1_64 Depth=4
	s_mov_b32 s13, 0
.LBB1_124:                              ;   Parent Loop BB1_13 Depth=1
                                        ;     Parent Loop BB1_20 Depth=2
                                        ;       Parent Loop BB1_34 Depth=3
                                        ;         Parent Loop BB1_64 Depth=4
                                        ; =>        This Inner Loop Header: Depth=5
	v_dual_mov_b32 v4, s10 :: v_dual_mov_b32 v5, s11
	s_sleep 1
	global_store_b64 v[8:9], v[6:7], off
	s_waitcnt_vscnt null, 0x0
	global_atomic_cmpswap_b64 v[4:5], v53, v[4:7], s[2:3] offset:32 glc
	s_waitcnt vmcnt(0)
	v_cmp_eq_u64_e32 vcc_lo, v[4:5], v[6:7]
	v_dual_mov_b32 v7, v5 :: v_dual_mov_b32 v6, v4
	s_or_b32 s13, vcc_lo, s13
	s_delay_alu instid0(SALU_CYCLE_1)
	s_and_not1_b32 exec_lo, exec_lo, s13
	s_cbranch_execnz .LBB1_124
.LBB1_125:                              ;   in Loop: Header=BB1_64 Depth=4
	s_or_b32 exec_lo, exec_lo, s12
	global_load_b64 v[4:5], v53, s[2:3] offset:16
	s_mov_b32 s13, exec_lo
	s_mov_b32 s12, exec_lo
	v_mbcnt_lo_u32_b32 v6, s13, 0
	s_delay_alu instid0(VALU_DEP_1)
	v_cmpx_eq_u32_e32 0, v6
	s_cbranch_execz .LBB1_127
; %bb.126:                              ;   in Loop: Header=BB1_64 Depth=4
	s_bcnt1_i32_b32 s13, s13
	s_delay_alu instid0(SALU_CYCLE_1)
	v_mov_b32_e32 v52, s13
	s_waitcnt vmcnt(0)
	global_atomic_add_u64 v[4:5], v[52:53], off offset:8
.LBB1_127:                              ;   in Loop: Header=BB1_64 Depth=4
	s_or_b32 exec_lo, exec_lo, s12
	s_waitcnt vmcnt(0)
	global_load_b64 v[6:7], v[4:5], off offset:16
	s_waitcnt vmcnt(0)
	v_cmp_eq_u64_e32 vcc_lo, 0, v[6:7]
	s_cbranch_vccnz .LBB1_129
; %bb.128:                              ;   in Loop: Header=BB1_64 Depth=4
	global_load_b32 v52, v[4:5], off offset:24
	s_waitcnt vmcnt(0)
	v_and_b32_e32 v4, 0xffffff, v52
	s_waitcnt_vscnt null, 0x0
	global_store_b64 v[6:7], v[52:53], off
	v_readfirstlane_b32 m0, v4
	s_sendmsg sendmsg(MSG_INTERRUPT)
.LBB1_129:                              ;   in Loop: Header=BB1_64 Depth=4
	s_or_b32 exec_lo, exec_lo, s1
	v_add_co_u32 v4, vcc_lo, v22, v27
	v_add_co_ci_u32_e32 v5, vcc_lo, 0, v23, vcc_lo
	s_branch .LBB1_133
	.p2align	6
.LBB1_130:                              ;   in Loop: Header=BB1_133 Depth=5
	s_or_b32 exec_lo, exec_lo, s1
	s_delay_alu instid0(VALU_DEP_1) | instskip(NEXT) | instid1(VALU_DEP_1)
	v_readfirstlane_b32 s1, v6
	s_cmp_eq_u32 s1, 0
	s_cbranch_scc1 .LBB1_132
; %bb.131:                              ;   in Loop: Header=BB1_133 Depth=5
	s_sleep 1
	s_cbranch_execnz .LBB1_133
	s_branch .LBB1_135
	.p2align	6
.LBB1_132:                              ;   in Loop: Header=BB1_64 Depth=4
	s_branch .LBB1_135
.LBB1_133:                              ;   Parent Loop BB1_13 Depth=1
                                        ;     Parent Loop BB1_20 Depth=2
                                        ;       Parent Loop BB1_34 Depth=3
                                        ;         Parent Loop BB1_64 Depth=4
                                        ; =>        This Inner Loop Header: Depth=5
	v_mov_b32_e32 v6, 1
	s_and_saveexec_b32 s1, s0
	s_cbranch_execz .LBB1_130
; %bb.134:                              ;   in Loop: Header=BB1_133 Depth=5
	global_load_b32 v6, v[24:25], off offset:20 glc
	s_waitcnt vmcnt(0)
	buffer_gl1_inv
	buffer_gl0_inv
	v_and_b32_e32 v6, 1, v6
	s_branch .LBB1_130
.LBB1_135:                              ;   in Loop: Header=BB1_64 Depth=4
	global_load_b128 v[4:7], v[4:5], off
	s_and_saveexec_b32 s1, s0
	s_cbranch_execz .LBB1_63
; %bb.136:                              ;   in Loop: Header=BB1_64 Depth=4
	s_clause 0x2
	global_load_b64 v[8:9], v53, s[2:3] offset:40
	global_load_b64 v[12:13], v53, s[2:3] offset:24 glc
	global_load_b64 v[10:11], v53, s[2:3]
	s_waitcnt vmcnt(2)
	v_add_co_u32 v14, vcc_lo, v8, 1
	v_add_co_ci_u32_e32 v15, vcc_lo, 0, v9, vcc_lo
	s_delay_alu instid0(VALU_DEP_2) | instskip(NEXT) | instid1(VALU_DEP_2)
	v_add_co_u32 v6, vcc_lo, v14, s10
	v_add_co_ci_u32_e32 v7, vcc_lo, s11, v15, vcc_lo
	s_delay_alu instid0(VALU_DEP_1) | instskip(SKIP_1) | instid1(VALU_DEP_1)
	v_cmp_eq_u64_e32 vcc_lo, 0, v[6:7]
	v_dual_cndmask_b32 v7, v7, v15 :: v_dual_cndmask_b32 v6, v6, v14
	v_and_b32_e32 v9, v7, v9
	s_delay_alu instid0(VALU_DEP_2) | instskip(NEXT) | instid1(VALU_DEP_1)
	v_and_b32_e32 v8, v6, v8
	v_mul_hi_u32 v14, v8, 24
	v_mul_lo_u32 v8, v8, 24
	s_waitcnt vmcnt(0)
	s_delay_alu instid0(VALU_DEP_1) | instskip(SKIP_2) | instid1(VALU_DEP_1)
	v_add_co_u32 v10, vcc_lo, v10, v8
	v_mov_b32_e32 v8, v12
	v_mul_lo_u32 v9, v9, 24
	v_add_nc_u32_e32 v9, v14, v9
	s_delay_alu instid0(VALU_DEP_1)
	v_add_co_ci_u32_e32 v11, vcc_lo, v11, v9, vcc_lo
	v_mov_b32_e32 v9, v13
	global_store_b64 v[10:11], v[12:13], off
	s_waitcnt_vscnt null, 0x0
	global_atomic_cmpswap_b64 v[8:9], v53, v[6:9], s[2:3] offset:24 glc
	s_waitcnt vmcnt(0)
	v_cmp_ne_u64_e32 vcc_lo, v[8:9], v[12:13]
	s_and_b32 exec_lo, exec_lo, vcc_lo
	s_cbranch_execz .LBB1_63
; %bb.137:                              ;   in Loop: Header=BB1_64 Depth=4
	s_mov_b32 s0, 0
.LBB1_138:                              ;   Parent Loop BB1_13 Depth=1
                                        ;     Parent Loop BB1_20 Depth=2
                                        ;       Parent Loop BB1_34 Depth=3
                                        ;         Parent Loop BB1_64 Depth=4
                                        ; =>        This Inner Loop Header: Depth=5
	s_sleep 1
	global_store_b64 v[10:11], v[8:9], off
	s_waitcnt_vscnt null, 0x0
	global_atomic_cmpswap_b64 v[12:13], v53, v[6:9], s[2:3] offset:24 glc
	s_waitcnt vmcnt(0)
	v_cmp_eq_u64_e32 vcc_lo, v[12:13], v[8:9]
	v_dual_mov_b32 v8, v12 :: v_dual_mov_b32 v9, v13
	s_or_b32 s0, vcc_lo, s0
	s_delay_alu instid0(SALU_CYCLE_1)
	s_and_not1_b32 exec_lo, exec_lo, s0
	s_cbranch_execnz .LBB1_138
	s_branch .LBB1_63
.LBB1_139:                              ;   in Loop: Header=BB1_34 Depth=3
	s_branch .LBB1_167
.LBB1_140:                              ;   in Loop: Header=BB1_34 Depth=3
	s_cbranch_execz .LBB1_167
; %bb.141:                              ;   in Loop: Header=BB1_34 Depth=3
	v_readfirstlane_b32 s0, v91
	s_waitcnt vmcnt(0)
	v_mov_b32_e32 v4, 0
	v_mov_b32_e32 v5, 0
	s_delay_alu instid0(VALU_DEP_3) | instskip(NEXT) | instid1(VALU_DEP_1)
	v_cmp_eq_u32_e64 s0, s0, v91
	s_and_saveexec_b32 s1, s0
	s_cbranch_execz .LBB1_147
; %bb.142:                              ;   in Loop: Header=BB1_34 Depth=3
	global_load_b64 v[6:7], v53, s[2:3] offset:24 glc
	s_waitcnt vmcnt(0)
	buffer_gl1_inv
	buffer_gl0_inv
	s_clause 0x1
	global_load_b64 v[4:5], v53, s[2:3] offset:40
	global_load_b64 v[8:9], v53, s[2:3]
	s_mov_b32 s4, exec_lo
	s_waitcnt vmcnt(1)
	v_and_b32_e32 v5, v5, v7
	v_and_b32_e32 v4, v4, v6
	s_delay_alu instid0(VALU_DEP_2) | instskip(NEXT) | instid1(VALU_DEP_2)
	v_mul_lo_u32 v5, v5, 24
	v_mul_hi_u32 v10, v4, 24
	v_mul_lo_u32 v4, v4, 24
	s_delay_alu instid0(VALU_DEP_2) | instskip(SKIP_1) | instid1(VALU_DEP_2)
	v_add_nc_u32_e32 v5, v10, v5
	s_waitcnt vmcnt(0)
	v_add_co_u32 v4, vcc_lo, v8, v4
	s_delay_alu instid0(VALU_DEP_2)
	v_add_co_ci_u32_e32 v5, vcc_lo, v9, v5, vcc_lo
	global_load_b64 v[4:5], v[4:5], off glc
	s_waitcnt vmcnt(0)
	global_atomic_cmpswap_b64 v[4:5], v53, v[4:7], s[2:3] offset:24 glc
	s_waitcnt vmcnt(0)
	buffer_gl1_inv
	buffer_gl0_inv
	v_cmpx_ne_u64_e64 v[4:5], v[6:7]
	s_cbranch_execz .LBB1_146
; %bb.143:                              ;   in Loop: Header=BB1_34 Depth=3
	s_mov_b32 s5, 0
	.p2align	6
.LBB1_144:                              ;   Parent Loop BB1_13 Depth=1
                                        ;     Parent Loop BB1_20 Depth=2
                                        ;       Parent Loop BB1_34 Depth=3
                                        ; =>      This Inner Loop Header: Depth=4
	s_sleep 1
	s_clause 0x1
	global_load_b64 v[8:9], v53, s[2:3] offset:40
	global_load_b64 v[10:11], v53, s[2:3]
	v_dual_mov_b32 v7, v5 :: v_dual_mov_b32 v6, v4
	s_waitcnt vmcnt(1)
	s_delay_alu instid0(VALU_DEP_1) | instskip(SKIP_1) | instid1(VALU_DEP_1)
	v_and_b32_e32 v8, v8, v6
	s_waitcnt vmcnt(0)
	v_mad_u64_u32 v[4:5], null, v8, 24, v[10:11]
	v_and_b32_e32 v10, v9, v7
	s_delay_alu instid0(VALU_DEP_1) | instskip(NEXT) | instid1(VALU_DEP_1)
	v_mad_u64_u32 v[8:9], null, v10, 24, v[5:6]
	v_mov_b32_e32 v5, v8
	global_load_b64 v[4:5], v[4:5], off glc
	s_waitcnt vmcnt(0)
	global_atomic_cmpswap_b64 v[4:5], v53, v[4:7], s[2:3] offset:24 glc
	s_waitcnt vmcnt(0)
	buffer_gl1_inv
	buffer_gl0_inv
	v_cmp_eq_u64_e32 vcc_lo, v[4:5], v[6:7]
	s_or_b32 s5, vcc_lo, s5
	s_delay_alu instid0(SALU_CYCLE_1)
	s_and_not1_b32 exec_lo, exec_lo, s5
	s_cbranch_execnz .LBB1_144
; %bb.145:                              ;   in Loop: Header=BB1_34 Depth=3
	s_or_b32 exec_lo, exec_lo, s5
.LBB1_146:                              ;   in Loop: Header=BB1_34 Depth=3
	s_delay_alu instid0(SALU_CYCLE_1)
	s_or_b32 exec_lo, exec_lo, s4
.LBB1_147:                              ;   in Loop: Header=BB1_34 Depth=3
	s_delay_alu instid0(SALU_CYCLE_1)
	s_or_b32 exec_lo, exec_lo, s1
	s_clause 0x1
	global_load_b64 v[10:11], v53, s[2:3] offset:40
	global_load_b128 v[6:9], v53, s[2:3]
	v_readfirstlane_b32 s4, v4
	v_readfirstlane_b32 s5, v5
	s_mov_b32 s1, exec_lo
	s_waitcnt vmcnt(1)
	v_readfirstlane_b32 s6, v10
	v_readfirstlane_b32 s7, v11
	s_delay_alu instid0(VALU_DEP_1) | instskip(NEXT) | instid1(SALU_CYCLE_1)
	s_and_b64 s[6:7], s[4:5], s[6:7]
	s_mul_i32 s8, s7, 24
	s_mul_hi_u32 s9, s6, 24
	s_mul_i32 s10, s6, 24
	s_add_i32 s9, s9, s8
	s_waitcnt vmcnt(0)
	v_add_co_u32 v10, vcc_lo, v6, s10
	v_add_co_ci_u32_e32 v11, vcc_lo, s9, v7, vcc_lo
	s_and_saveexec_b32 s8, s0
	s_cbranch_execz .LBB1_149
; %bb.148:                              ;   in Loop: Header=BB1_34 Depth=3
	v_mov_b32_e32 v52, s1
	global_store_b128 v[10:11], v[52:55], off offset:8
.LBB1_149:                              ;   in Loop: Header=BB1_34 Depth=3
	s_or_b32 exec_lo, exec_lo, s8
	s_lshl_b64 s[6:7], s[6:7], 12
	s_mov_b32 s37, s36
	v_add_co_u32 v8, vcc_lo, v8, s6
	v_add_co_ci_u32_e32 v9, vcc_lo, s7, v9, vcc_lo
	s_mov_b32 s38, s36
	s_mov_b32 s39, s36
	v_and_or_b32 v2, 0xffffff1d, v2, 34
	v_mov_b32_e32 v4, v53
	v_dual_mov_b32 v5, v53 :: v_dual_mov_b32 v12, s36
	v_readfirstlane_b32 s6, v8
	v_readfirstlane_b32 s7, v9
	v_dual_mov_b32 v13, s37 :: v_dual_mov_b32 v14, s38
	v_mov_b32_e32 v15, s39
	s_clause 0x3
	global_store_b128 v27, v[2:5], s[6:7]
	global_store_b128 v27, v[12:15], s[6:7] offset:16
	global_store_b128 v27, v[12:15], s[6:7] offset:32
	;; [unrolled: 1-line block ×3, first 2 shown]
	s_and_saveexec_b32 s1, s0
	s_cbranch_execz .LBB1_157
; %bb.150:                              ;   in Loop: Header=BB1_34 Depth=3
	s_clause 0x1
	global_load_b64 v[14:15], v53, s[2:3] offset:32 glc
	global_load_b64 v[2:3], v53, s[2:3] offset:40
	v_dual_mov_b32 v12, s4 :: v_dual_mov_b32 v13, s5
	s_waitcnt vmcnt(0)
	v_readfirstlane_b32 s6, v2
	v_readfirstlane_b32 s7, v3
	s_delay_alu instid0(VALU_DEP_1) | instskip(NEXT) | instid1(SALU_CYCLE_1)
	s_and_b64 s[6:7], s[6:7], s[4:5]
	s_mul_i32 s7, s7, 24
	s_mul_hi_u32 s8, s6, 24
	s_mul_i32 s6, s6, 24
	s_add_i32 s8, s8, s7
	v_add_co_u32 v6, vcc_lo, v6, s6
	v_add_co_ci_u32_e32 v7, vcc_lo, s8, v7, vcc_lo
	s_mov_b32 s6, exec_lo
	global_store_b64 v[6:7], v[14:15], off
	s_waitcnt_vscnt null, 0x0
	global_atomic_cmpswap_b64 v[4:5], v53, v[12:15], s[2:3] offset:32 glc
	s_waitcnt vmcnt(0)
	v_cmpx_ne_u64_e64 v[4:5], v[14:15]
	s_cbranch_execz .LBB1_153
; %bb.151:                              ;   in Loop: Header=BB1_34 Depth=3
	s_mov_b32 s7, 0
.LBB1_152:                              ;   Parent Loop BB1_13 Depth=1
                                        ;     Parent Loop BB1_20 Depth=2
                                        ;       Parent Loop BB1_34 Depth=3
                                        ; =>      This Inner Loop Header: Depth=4
	v_dual_mov_b32 v2, s4 :: v_dual_mov_b32 v3, s5
	s_sleep 1
	global_store_b64 v[6:7], v[4:5], off
	s_waitcnt_vscnt null, 0x0
	global_atomic_cmpswap_b64 v[2:3], v53, v[2:5], s[2:3] offset:32 glc
	s_waitcnt vmcnt(0)
	v_cmp_eq_u64_e32 vcc_lo, v[2:3], v[4:5]
	v_dual_mov_b32 v5, v3 :: v_dual_mov_b32 v4, v2
	s_or_b32 s7, vcc_lo, s7
	s_delay_alu instid0(SALU_CYCLE_1)
	s_and_not1_b32 exec_lo, exec_lo, s7
	s_cbranch_execnz .LBB1_152
.LBB1_153:                              ;   in Loop: Header=BB1_34 Depth=3
	s_or_b32 exec_lo, exec_lo, s6
	global_load_b64 v[2:3], v53, s[2:3] offset:16
	s_mov_b32 s7, exec_lo
	s_mov_b32 s6, exec_lo
	v_mbcnt_lo_u32_b32 v4, s7, 0
	s_delay_alu instid0(VALU_DEP_1)
	v_cmpx_eq_u32_e32 0, v4
	s_cbranch_execz .LBB1_155
; %bb.154:                              ;   in Loop: Header=BB1_34 Depth=3
	s_bcnt1_i32_b32 s7, s7
	s_delay_alu instid0(SALU_CYCLE_1)
	v_mov_b32_e32 v52, s7
	s_waitcnt vmcnt(0)
	global_atomic_add_u64 v[2:3], v[52:53], off offset:8
.LBB1_155:                              ;   in Loop: Header=BB1_34 Depth=3
	s_or_b32 exec_lo, exec_lo, s6
	s_waitcnt vmcnt(0)
	global_load_b64 v[4:5], v[2:3], off offset:16
	s_waitcnt vmcnt(0)
	v_cmp_eq_u64_e32 vcc_lo, 0, v[4:5]
	s_cbranch_vccnz .LBB1_157
; %bb.156:                              ;   in Loop: Header=BB1_34 Depth=3
	global_load_b32 v52, v[2:3], off offset:24
	s_waitcnt vmcnt(0)
	v_and_b32_e32 v2, 0xffffff, v52
	s_waitcnt_vscnt null, 0x0
	global_store_b64 v[4:5], v[52:53], off
	v_readfirstlane_b32 m0, v2
	s_sendmsg sendmsg(MSG_INTERRUPT)
.LBB1_157:                              ;   in Loop: Header=BB1_34 Depth=3
	s_or_b32 exec_lo, exec_lo, s1
	s_branch .LBB1_161
	.p2align	6
.LBB1_158:                              ;   in Loop: Header=BB1_161 Depth=4
	s_or_b32 exec_lo, exec_lo, s1
	s_delay_alu instid0(VALU_DEP_1) | instskip(NEXT) | instid1(VALU_DEP_1)
	v_readfirstlane_b32 s1, v2
	s_cmp_eq_u32 s1, 0
	s_cbranch_scc1 .LBB1_160
; %bb.159:                              ;   in Loop: Header=BB1_161 Depth=4
	s_sleep 1
	s_cbranch_execnz .LBB1_161
	s_branch .LBB1_163
	.p2align	6
.LBB1_160:                              ;   in Loop: Header=BB1_34 Depth=3
	s_branch .LBB1_163
.LBB1_161:                              ;   Parent Loop BB1_13 Depth=1
                                        ;     Parent Loop BB1_20 Depth=2
                                        ;       Parent Loop BB1_34 Depth=3
                                        ; =>      This Inner Loop Header: Depth=4
	v_mov_b32_e32 v2, 1
	s_and_saveexec_b32 s1, s0
	s_cbranch_execz .LBB1_158
; %bb.162:                              ;   in Loop: Header=BB1_161 Depth=4
	global_load_b32 v2, v[10:11], off offset:20 glc
	s_waitcnt vmcnt(0)
	buffer_gl1_inv
	buffer_gl0_inv
	v_and_b32_e32 v2, 1, v2
	s_branch .LBB1_158
.LBB1_163:                              ;   in Loop: Header=BB1_34 Depth=3
	s_and_b32 exec_lo, exec_lo, s0
	s_cbranch_execz .LBB1_167
; %bb.164:                              ;   in Loop: Header=BB1_34 Depth=3
	s_clause 0x2
	global_load_b64 v[4:5], v53, s[2:3] offset:40
	global_load_b64 v[8:9], v53, s[2:3] offset:24 glc
	global_load_b64 v[6:7], v53, s[2:3]
	s_waitcnt vmcnt(2)
	v_add_co_u32 v10, vcc_lo, v4, 1
	v_add_co_ci_u32_e32 v11, vcc_lo, 0, v5, vcc_lo
	s_delay_alu instid0(VALU_DEP_2) | instskip(NEXT) | instid1(VALU_DEP_2)
	v_add_co_u32 v2, vcc_lo, v10, s4
	v_add_co_ci_u32_e32 v3, vcc_lo, s5, v11, vcc_lo
	s_delay_alu instid0(VALU_DEP_1) | instskip(SKIP_1) | instid1(VALU_DEP_1)
	v_cmp_eq_u64_e32 vcc_lo, 0, v[2:3]
	v_dual_cndmask_b32 v3, v3, v11 :: v_dual_cndmask_b32 v2, v2, v10
	v_and_b32_e32 v5, v3, v5
	s_delay_alu instid0(VALU_DEP_2) | instskip(NEXT) | instid1(VALU_DEP_1)
	v_and_b32_e32 v4, v2, v4
	v_mul_hi_u32 v10, v4, 24
	v_mul_lo_u32 v4, v4, 24
	s_waitcnt vmcnt(0)
	s_delay_alu instid0(VALU_DEP_1) | instskip(SKIP_2) | instid1(VALU_DEP_1)
	v_add_co_u32 v6, vcc_lo, v6, v4
	v_mov_b32_e32 v4, v8
	v_mul_lo_u32 v5, v5, 24
	v_add_nc_u32_e32 v5, v10, v5
	s_delay_alu instid0(VALU_DEP_1)
	v_add_co_ci_u32_e32 v7, vcc_lo, v7, v5, vcc_lo
	v_mov_b32_e32 v5, v9
	global_store_b64 v[6:7], v[8:9], off
	s_waitcnt_vscnt null, 0x0
	global_atomic_cmpswap_b64 v[4:5], v53, v[2:5], s[2:3] offset:24 glc
	s_waitcnt vmcnt(0)
	v_cmp_ne_u64_e32 vcc_lo, v[4:5], v[8:9]
	s_and_b32 exec_lo, exec_lo, vcc_lo
	s_cbranch_execz .LBB1_167
; %bb.165:                              ;   in Loop: Header=BB1_34 Depth=3
	s_mov_b32 s0, 0
.LBB1_166:                              ;   Parent Loop BB1_13 Depth=1
                                        ;     Parent Loop BB1_20 Depth=2
                                        ;       Parent Loop BB1_34 Depth=3
                                        ; =>      This Inner Loop Header: Depth=4
	s_sleep 1
	global_store_b64 v[6:7], v[4:5], off
	s_waitcnt_vscnt null, 0x0
	global_atomic_cmpswap_b64 v[8:9], v53, v[2:5], s[2:3] offset:24 glc
	s_waitcnt vmcnt(0)
	v_cmp_eq_u64_e32 vcc_lo, v[8:9], v[4:5]
	v_dual_mov_b32 v4, v8 :: v_dual_mov_b32 v5, v9
	s_or_b32 s0, vcc_lo, s0
	s_delay_alu instid0(SALU_CYCLE_1)
	s_and_not1_b32 exec_lo, exec_lo, s0
	s_cbranch_execnz .LBB1_166
.LBB1_167:                              ;   in Loop: Header=BB1_34 Depth=3
	s_or_b32 exec_lo, exec_lo, s14
	s_waitcnt vmcnt(0)
	v_add_co_u32 v2, vcc_lo, v100, v26
	v_add_co_ci_u32_e32 v3, vcc_lo, 0, v101, vcc_lo
	s_mov_b32 s1, exec_lo
	global_load_u8 v4, v[2:3], off
	s_waitcnt vmcnt(0)
	v_cmpx_ne_u16_e32 0x4e, v4
	s_cbranch_execz .LBB1_33
; %bb.168:                              ;   in Loop: Header=BB1_34 Depth=3
	v_add_co_u32 v2, vcc_lo, v102, v26
	v_add_co_ci_u32_e32 v3, vcc_lo, 0, v103, vcc_lo
	s_mov_b32 s2, exec_lo
	global_load_i8 v2, v[2:3], off
	s_waitcnt vmcnt(0)
	v_subrev_nc_u32_e32 v5, s42, v2
	s_delay_alu instid0(VALU_DEP_1)
	v_cmpx_lt_i32_e32 9, v5
	s_cbranch_execz .LBB1_173
; %bb.169:                              ;   in Loop: Header=BB1_34 Depth=3
	s_mov_b32 s3, 0
	s_mov_b32 s0, exec_lo
                                        ; implicit-def: $vgpr2_vgpr3
	v_cmpx_lt_i16_e32 0x46, v4
	s_xor_b32 s0, exec_lo, s0
	s_cbranch_execnz .LBB1_177
; %bb.170:                              ;   in Loop: Header=BB1_34 Depth=3
	s_and_not1_saveexec_b32 s4, s0
	s_cbranch_execnz .LBB1_186
.LBB1_171:                              ;   in Loop: Header=BB1_34 Depth=3
	s_or_b32 exec_lo, exec_lo, s4
	s_delay_alu instid0(SALU_CYCLE_1)
	s_and_b32 exec_lo, exec_lo, s3
	s_cbranch_execz .LBB1_173
.LBB1_172:                              ;   in Loop: Header=BB1_34 Depth=3
	flat_atomic_add_u32 v[2:3], v55
.LBB1_173:                              ;   in Loop: Header=BB1_34 Depth=3
	s_or_b32 exec_lo, exec_lo, s2
	v_cmp_lt_i32_e32 vcc_lo, 19, v5
	s_and_b32 exec_lo, exec_lo, vcc_lo
	s_cbranch_execz .LBB1_33
; %bb.174:                              ;   in Loop: Header=BB1_34 Depth=3
	s_mov_b32 s2, 0
	s_mov_b32 s0, exec_lo
                                        ; implicit-def: $vgpr2_vgpr3
	v_cmpx_lt_i16_e32 0x46, v4
	s_xor_b32 s0, exec_lo, s0
	s_cbranch_execnz .LBB1_193
; %bb.175:                              ;   in Loop: Header=BB1_34 Depth=3
	s_and_not1_saveexec_b32 s3, s0
	s_cbranch_execnz .LBB1_202
.LBB1_176:                              ;   in Loop: Header=BB1_34 Depth=3
	s_or_b32 exec_lo, exec_lo, s3
	s_delay_alu instid0(SALU_CYCLE_1)
	s_and_b32 exec_lo, exec_lo, s2
	s_cbranch_execz .LBB1_33
	s_branch .LBB1_209
.LBB1_177:                              ;   in Loop: Header=BB1_34 Depth=3
	s_mov_b32 s4, exec_lo
                                        ; implicit-def: $vgpr2_vgpr3
	v_cmpx_lt_i16_e32 0x53, v4
	s_xor_b32 s4, exec_lo, s4
	s_cbranch_execz .LBB1_181
; %bb.178:                              ;   in Loop: Header=BB1_34 Depth=3
	s_mov_b32 s5, exec_lo
                                        ; implicit-def: $vgpr2_vgpr3
	v_cmpx_eq_u16_e32 0x54, v4
; %bb.179:                              ;   in Loop: Header=BB1_34 Depth=3
	v_add_co_u32 v2, vcc_lo, v0, 44
	s_mov_b32 s3, exec_lo
	v_add_co_ci_u32_e32 v3, vcc_lo, 0, v1, vcc_lo
; %bb.180:                              ;   in Loop: Header=BB1_34 Depth=3
	s_or_b32 exec_lo, exec_lo, s5
	s_delay_alu instid0(SALU_CYCLE_1)
	s_and_b32 s3, s3, exec_lo
.LBB1_181:                              ;   in Loop: Header=BB1_34 Depth=3
	s_and_not1_saveexec_b32 s4, s4
	s_cbranch_execz .LBB1_185
; %bb.182:                              ;   in Loop: Header=BB1_34 Depth=3
	s_mov_b32 s5, s3
	s_mov_b32 s6, exec_lo
                                        ; implicit-def: $vgpr2_vgpr3
	v_cmpx_eq_u16_e32 0x47, v4
; %bb.183:                              ;   in Loop: Header=BB1_34 Depth=3
	v_add_co_u32 v2, vcc_lo, v0, 40
	v_add_co_ci_u32_e32 v3, vcc_lo, 0, v1, vcc_lo
	s_or_b32 s5, s3, exec_lo
; %bb.184:                              ;   in Loop: Header=BB1_34 Depth=3
	s_or_b32 exec_lo, exec_lo, s6
	s_delay_alu instid0(SALU_CYCLE_1) | instskip(SKIP_1) | instid1(SALU_CYCLE_1)
	s_and_not1_b32 s3, s3, exec_lo
	s_and_b32 s5, s5, exec_lo
	s_or_b32 s3, s3, s5
.LBB1_185:                              ;   in Loop: Header=BB1_34 Depth=3
	s_or_b32 exec_lo, exec_lo, s4
	s_delay_alu instid0(SALU_CYCLE_1)
	s_and_b32 s3, s3, exec_lo
	s_and_not1_saveexec_b32 s4, s0
	s_cbranch_execz .LBB1_171
.LBB1_186:                              ;   in Loop: Header=BB1_34 Depth=3
	s_mov_b32 s5, s3
	s_mov_b32 s0, exec_lo
                                        ; implicit-def: $vgpr2_vgpr3
	v_cmpx_lt_i16_e32 0x42, v4
	s_xor_b32 s0, exec_lo, s0
	s_cbranch_execz .LBB1_190
; %bb.187:                              ;   in Loop: Header=BB1_34 Depth=3
	s_mov_b32 s5, s3
	s_mov_b32 s6, exec_lo
                                        ; implicit-def: $vgpr2_vgpr3
	v_cmpx_eq_u16_e32 0x43, v4
; %bb.188:                              ;   in Loop: Header=BB1_34 Depth=3
	v_add_co_u32 v2, vcc_lo, v0, 36
	v_add_co_ci_u32_e32 v3, vcc_lo, 0, v1, vcc_lo
	s_or_b32 s5, s3, exec_lo
; %bb.189:                              ;   in Loop: Header=BB1_34 Depth=3
	s_or_b32 exec_lo, exec_lo, s6
	s_delay_alu instid0(SALU_CYCLE_1) | instskip(SKIP_1) | instid1(SALU_CYCLE_1)
	s_and_not1_b32 s6, s3, exec_lo
	s_and_b32 s5, s5, exec_lo
	s_or_b32 s5, s6, s5
.LBB1_190:                              ;   in Loop: Header=BB1_34 Depth=3
	s_and_not1_saveexec_b32 s6, s0
; %bb.191:                              ;   in Loop: Header=BB1_34 Depth=3
	v_cmp_eq_u16_e32 vcc_lo, 0x41, v4
	v_add_co_u32 v2, s0, v0, 32
	s_delay_alu instid0(VALU_DEP_1) | instskip(SKIP_2) | instid1(SALU_CYCLE_1)
	v_add_co_ci_u32_e64 v3, s0, 0, v1, s0
	s_and_not1_b32 s0, s5, exec_lo
	s_and_b32 s5, vcc_lo, exec_lo
	s_or_b32 s5, s0, s5
; %bb.192:                              ;   in Loop: Header=BB1_34 Depth=3
	s_or_b32 exec_lo, exec_lo, s6
	s_delay_alu instid0(SALU_CYCLE_1) | instskip(SKIP_1) | instid1(SALU_CYCLE_1)
	s_and_not1_b32 s0, s3, exec_lo
	s_and_b32 s3, s5, exec_lo
	s_or_b32 s3, s0, s3
	s_or_b32 exec_lo, exec_lo, s4
	s_delay_alu instid0(SALU_CYCLE_1)
	s_and_b32 exec_lo, exec_lo, s3
	s_cbranch_execnz .LBB1_172
	s_branch .LBB1_173
.LBB1_193:                              ;   in Loop: Header=BB1_34 Depth=3
	s_mov_b32 s3, exec_lo
                                        ; implicit-def: $vgpr2_vgpr3
	v_cmpx_lt_i16_e32 0x53, v4
	s_xor_b32 s3, exec_lo, s3
	s_cbranch_execz .LBB1_197
; %bb.194:                              ;   in Loop: Header=BB1_34 Depth=3
	s_mov_b32 s4, exec_lo
                                        ; implicit-def: $vgpr2_vgpr3
	v_cmpx_eq_u16_e32 0x54, v4
; %bb.195:                              ;   in Loop: Header=BB1_34 Depth=3
	v_add_co_u32 v2, vcc_lo, v0, 28
	s_mov_b32 s2, exec_lo
	v_add_co_ci_u32_e32 v3, vcc_lo, 0, v1, vcc_lo
; %bb.196:                              ;   in Loop: Header=BB1_34 Depth=3
	s_or_b32 exec_lo, exec_lo, s4
	s_delay_alu instid0(SALU_CYCLE_1)
	s_and_b32 s2, s2, exec_lo
                                        ; implicit-def: $vgpr4
                                        ; implicit-def: $vgpr0
                                        ; implicit-def: $vgpr1
.LBB1_197:                              ;   in Loop: Header=BB1_34 Depth=3
	s_and_not1_saveexec_b32 s3, s3
	s_cbranch_execz .LBB1_201
; %bb.198:                              ;   in Loop: Header=BB1_34 Depth=3
	s_mov_b32 s4, s2
	s_mov_b32 s5, exec_lo
                                        ; implicit-def: $vgpr2_vgpr3
	v_cmpx_eq_u16_e32 0x47, v4
; %bb.199:                              ;   in Loop: Header=BB1_34 Depth=3
	v_add_co_u32 v2, vcc_lo, v0, 24
	v_add_co_ci_u32_e32 v3, vcc_lo, 0, v1, vcc_lo
	s_or_b32 s4, s2, exec_lo
; %bb.200:                              ;   in Loop: Header=BB1_34 Depth=3
	s_or_b32 exec_lo, exec_lo, s5
	s_delay_alu instid0(SALU_CYCLE_1) | instskip(SKIP_1) | instid1(SALU_CYCLE_1)
	s_and_not1_b32 s2, s2, exec_lo
	s_and_b32 s4, s4, exec_lo
	s_or_b32 s2, s2, s4
.LBB1_201:                              ;   in Loop: Header=BB1_34 Depth=3
	s_or_b32 exec_lo, exec_lo, s3
	s_delay_alu instid0(SALU_CYCLE_1)
	s_and_b32 s2, s2, exec_lo
                                        ; implicit-def: $vgpr0
                                        ; implicit-def: $vgpr1
                                        ; implicit-def: $vgpr4
	s_and_not1_saveexec_b32 s3, s0
	s_cbranch_execz .LBB1_176
.LBB1_202:                              ;   in Loop: Header=BB1_34 Depth=3
	s_mov_b32 s4, s2
	s_mov_b32 s0, exec_lo
                                        ; implicit-def: $vgpr2_vgpr3
	v_cmpx_lt_i16_e32 0x42, v4
	s_xor_b32 s0, exec_lo, s0
	s_cbranch_execz .LBB1_206
; %bb.203:                              ;   in Loop: Header=BB1_34 Depth=3
	s_mov_b32 s4, s2
	s_mov_b32 s5, exec_lo
                                        ; implicit-def: $vgpr2_vgpr3
	v_cmpx_eq_u16_e32 0x43, v4
; %bb.204:                              ;   in Loop: Header=BB1_34 Depth=3
	v_add_co_u32 v2, vcc_lo, v0, 20
	v_add_co_ci_u32_e32 v3, vcc_lo, 0, v1, vcc_lo
	s_or_b32 s4, s2, exec_lo
; %bb.205:                              ;   in Loop: Header=BB1_34 Depth=3
	s_or_b32 exec_lo, exec_lo, s5
	s_delay_alu instid0(SALU_CYCLE_1) | instskip(SKIP_1) | instid1(SALU_CYCLE_1)
	s_and_not1_b32 s5, s2, exec_lo
	s_and_b32 s4, s4, exec_lo
                                        ; implicit-def: $vgpr0
                                        ; implicit-def: $vgpr1
                                        ; implicit-def: $vgpr4
	s_or_b32 s4, s5, s4
.LBB1_206:                              ;   in Loop: Header=BB1_34 Depth=3
	s_and_not1_saveexec_b32 s5, s0
; %bb.207:                              ;   in Loop: Header=BB1_34 Depth=3
	v_cmp_eq_u16_e32 vcc_lo, 0x41, v4
	v_add_co_u32 v2, s0, v0, 16
	s_delay_alu instid0(VALU_DEP_1) | instskip(SKIP_2) | instid1(SALU_CYCLE_1)
	v_add_co_ci_u32_e64 v3, s0, 0, v1, s0
	s_and_not1_b32 s0, s4, exec_lo
	s_and_b32 s4, vcc_lo, exec_lo
	s_or_b32 s4, s0, s4
; %bb.208:                              ;   in Loop: Header=BB1_34 Depth=3
	s_or_b32 exec_lo, exec_lo, s5
	s_delay_alu instid0(SALU_CYCLE_1) | instskip(SKIP_1) | instid1(SALU_CYCLE_1)
	s_and_not1_b32 s0, s2, exec_lo
	s_and_b32 s2, s4, exec_lo
	s_or_b32 s2, s0, s2
	s_or_b32 exec_lo, exec_lo, s3
	s_delay_alu instid0(SALU_CYCLE_1)
	s_and_b32 exec_lo, exec_lo, s2
	s_cbranch_execz .LBB1_33
.LBB1_209:                              ;   in Loop: Header=BB1_34 Depth=3
	flat_atomic_add_u32 v[2:3], v55
	s_branch .LBB1_33
.LBB1_210:                              ;   in Loop: Header=BB1_13 Depth=1
	s_or_b32 exec_lo, exec_lo, s50
; %bb.211:                              ;   in Loop: Header=BB1_13 Depth=1
	s_and_saveexec_b32 s14, s29
	s_cbranch_execz .LBB1_558
; %bb.212:                              ;   in Loop: Header=BB1_13 Depth=1
	v_mov_b32_e32 v26, v70
	s_mov_b32 s15, 0
	s_branch .LBB1_214
.LBB1_213:                              ;   in Loop: Header=BB1_214 Depth=2
	s_or_b32 exec_lo, exec_lo, s16
	v_add_nc_u32_e32 v26, 32, v26
	s_delay_alu instid0(VALU_DEP_1) | instskip(SKIP_1) | instid1(SALU_CYCLE_1)
	v_cmp_ge_u32_e32 vcc_lo, v26, v45
	s_or_b32 s15, vcc_lo, s15
	s_and_not1_b32 exec_lo, exec_lo, s15
	s_cbranch_execz .LBB1_558
.LBB1_214:                              ;   Parent Loop BB1_13 Depth=1
                                        ; =>  This Loop Header: Depth=2
                                        ;       Child Loop BB1_323 Depth 3
                                        ;       Child Loop BB1_331 Depth 3
	;; [unrolled: 1-line block ×9, first 2 shown]
                                        ;         Child Loop BB1_424 Depth 4
                                        ;         Child Loop BB1_431 Depth 4
                                        ;         Child Loop BB1_438 Depth 4
                                        ;         Child Loop BB1_445 Depth 4
                                        ;         Child Loop BB1_452 Depth 4
                                        ;         Child Loop BB1_459 Depth 4
                                        ;         Child Loop BB1_466 Depth 4
                                        ;         Child Loop BB1_473 Depth 4
                                        ;         Child Loop BB1_481 Depth 4
                                        ;         Child Loop BB1_490 Depth 4
                                        ;         Child Loop BB1_495 Depth 4
	s_delay_alu instid0(VALU_DEP_1)
	v_mad_u64_u32 v[22:23], null, v26, 56, v[43:44]
	s_mov_b32 s16, exec_lo
	global_load_b32 v0, v[22:23], off offset:8
	s_waitcnt vmcnt(0)
	v_cmpx_ne_u32_e32 -1, v0
	s_cbranch_execz .LBB1_213
; %bb.215:                              ;   in Loop: Header=BB1_214 Depth=2
	s_clause 0x1
	global_load_b128 v[0:3], v[22:23], off offset:32
	global_load_b128 v[4:7], v[22:23], off offset:16
	s_mov_b32 s2, exec_lo
	s_waitcnt vmcnt(0)
	v_dual_mov_b32 v9, v3 :: v_dual_mov_b32 v14, v4
	v_dual_mov_b32 v11, v2 :: v_dual_mov_b32 v12, v5
	;; [unrolled: 1-line block ×3, first 2 shown]
	v_mov_b32_e32 v18, v0
	v_dual_mov_b32 v15, v0 :: v_dual_mov_b32 v8, v7
	s_clause 0x7
	scratch_store_b8 off, v92, off offset:16
	scratch_store_b64 off, v[14:15], off offset:20
	scratch_store_b8 off, v93, off offset:32
	scratch_store_b64 off, v[12:13], off offset:36
	;; [unrolled: 2-line block ×4, first 2 shown]
	v_cmpx_lt_u32_e32 1, v0
	s_cbranch_execz .LBB1_229
; %bb.216:                              ;   in Loop: Header=BB1_214 Depth=2
	v_cvt_f64_u32_e32 v[16:17], v0
	v_mov_b32_e32 v18, 2
	s_mov_b32 s3, exec_lo
	s_delay_alu instid0(VALU_DEP_2)
	v_cmpx_ngt_f64_e32 v[72:73], v[16:17]
	s_cbranch_execz .LBB1_228
; %bb.217:                              ;   in Loop: Header=BB1_214 Depth=2
	v_cvt_f64_u32_e32 v[14:15], v4
	v_cmp_ngt_f64_e32 vcc_lo, v[74:75], v[16:17]
	v_cmp_nle_f64_e64 s0, v[72:73], v[16:17]
	v_mov_b32_e32 v18, 3
	s_delay_alu instid0(VALU_DEP_4) | instskip(NEXT) | instid1(VALU_DEP_3)
	v_cmp_ngt_f64_e64 s1, v[72:73], v[14:15]
	s_or_b32 s0, vcc_lo, s0
	s_delay_alu instid0(VALU_DEP_1) | instid1(SALU_CYCLE_1)
	s_or_b32 s4, s0, s1
	s_delay_alu instid0(SALU_CYCLE_1)
	s_and_saveexec_b32 s1, s4
	s_cbranch_execz .LBB1_227
; %bb.218:                              ;   in Loop: Header=BB1_214 Depth=2
	v_cmp_nle_f64_e32 vcc_lo, v[72:73], v[14:15]
	v_mov_b32_e32 v18, 4
	s_or_b32 s0, s0, vcc_lo
	s_delay_alu instid0(SALU_CYCLE_1)
	s_and_saveexec_b32 s4, s0
	s_cbranch_execz .LBB1_226
; %bb.219:                              ;   in Loop: Header=BB1_214 Depth=2
	v_cmp_nle_f64_e64 s6, v[74:75], v[16:17]
	v_cmp_ngt_f64_e64 s0, v[72:73], v[14:15]
	v_cmp_le_f64_e32 vcc_lo, v[74:75], v[16:17]
	v_mov_b32_e32 v18, 5
	s_delay_alu instid0(VALU_DEP_3) | instskip(NEXT) | instid1(SALU_CYCLE_1)
	s_or_b32 s0, s6, s0
	s_and_saveexec_b32 s5, s0
	s_cbranch_execz .LBB1_225
; %bb.220:                              ;   in Loop: Header=BB1_214 Depth=2
                                        ; implicit-def: $sgpr0
	s_and_saveexec_b32 s7, vcc_lo
; %bb.221:                              ;   in Loop: Header=BB1_214 Depth=2
	v_cmp_nlt_f64_e32 vcc_lo, v[72:73], v[14:15]
	v_cmp_ngt_f64_e64 s0, v[74:75], v[14:15]
	s_and_not1_b32 s6, s6, exec_lo
	s_delay_alu instid0(VALU_DEP_1) | instskip(NEXT) | instid1(SALU_CYCLE_1)
	s_or_b32 s0, vcc_lo, s0
	s_and_b32 s8, s0, exec_lo
	s_mov_b32 s0, 6
	s_or_b32 s6, s6, s8
; %bb.222:                              ;   in Loop: Header=BB1_214 Depth=2
	s_or_b32 exec_lo, exec_lo, s7
	v_mov_b32_e32 v18, s0
	s_and_saveexec_b32 s0, s6
; %bb.223:                              ;   in Loop: Header=BB1_214 Depth=2
	v_mov_b32_e32 v18, 7
; %bb.224:                              ;   in Loop: Header=BB1_214 Depth=2
	s_or_b32 exec_lo, exec_lo, s0
.LBB1_225:                              ;   in Loop: Header=BB1_214 Depth=2
	s_delay_alu instid0(SALU_CYCLE_1)
	s_or_b32 exec_lo, exec_lo, s5
.LBB1_226:                              ;   in Loop: Header=BB1_214 Depth=2
	s_delay_alu instid0(SALU_CYCLE_1)
	s_or_b32 exec_lo, exec_lo, s4
.LBB1_227:                              ;   in Loop: Header=BB1_214 Depth=2
	s_delay_alu instid0(SALU_CYCLE_1)
	s_or_b32 exec_lo, exec_lo, s1
.LBB1_228:                              ;   in Loop: Header=BB1_214 Depth=2
	s_delay_alu instid0(SALU_CYCLE_1)
	s_or_b32 exec_lo, exec_lo, s3
.LBB1_229:                              ;   in Loop: Header=BB1_214 Depth=2
	s_delay_alu instid0(SALU_CYCLE_1) | instskip(NEXT) | instid1(SALU_CYCLE_1)
	s_or_b32 exec_lo, exec_lo, s2
	s_mov_b32 s2, exec_lo
	scratch_store_b32 off, v18, off offset:28
	v_cmpx_lt_u32_e32 1, v1
	s_cbranch_execz .LBB1_243
; %bb.230:                              ;   in Loop: Header=BB1_214 Depth=2
	v_cvt_f64_u32_e32 v[16:17], v1
	v_mov_b32_e32 v13, 2
	s_mov_b32 s3, exec_lo
	s_delay_alu instid0(VALU_DEP_2)
	v_cmpx_ngt_f64_e32 v[72:73], v[16:17]
	s_cbranch_execz .LBB1_242
; %bb.231:                              ;   in Loop: Header=BB1_214 Depth=2
	v_cvt_f64_u32_e32 v[14:15], v5
	v_cmp_ngt_f64_e32 vcc_lo, v[74:75], v[16:17]
	v_cmp_nle_f64_e64 s0, v[72:73], v[16:17]
	v_mov_b32_e32 v13, 3
	s_delay_alu instid0(VALU_DEP_4) | instskip(NEXT) | instid1(VALU_DEP_3)
	v_cmp_ngt_f64_e64 s1, v[72:73], v[14:15]
	s_or_b32 s0, vcc_lo, s0
	s_delay_alu instid0(VALU_DEP_1) | instid1(SALU_CYCLE_1)
	s_or_b32 s4, s0, s1
	s_delay_alu instid0(SALU_CYCLE_1)
	s_and_saveexec_b32 s1, s4
	s_cbranch_execz .LBB1_241
; %bb.232:                              ;   in Loop: Header=BB1_214 Depth=2
	v_cmp_nle_f64_e32 vcc_lo, v[72:73], v[14:15]
	v_mov_b32_e32 v13, 4
	s_or_b32 s0, s0, vcc_lo
	s_delay_alu instid0(SALU_CYCLE_1)
	s_and_saveexec_b32 s4, s0
	s_cbranch_execz .LBB1_240
; %bb.233:                              ;   in Loop: Header=BB1_214 Depth=2
	v_cmp_nle_f64_e64 s6, v[74:75], v[16:17]
	v_cmp_ngt_f64_e64 s0, v[72:73], v[14:15]
	v_cmp_le_f64_e32 vcc_lo, v[74:75], v[16:17]
	v_mov_b32_e32 v13, 5
	s_delay_alu instid0(VALU_DEP_3) | instskip(NEXT) | instid1(SALU_CYCLE_1)
	s_or_b32 s0, s6, s0
	s_and_saveexec_b32 s5, s0
	s_cbranch_execz .LBB1_239
; %bb.234:                              ;   in Loop: Header=BB1_214 Depth=2
                                        ; implicit-def: $sgpr0
	s_and_saveexec_b32 s7, vcc_lo
; %bb.235:                              ;   in Loop: Header=BB1_214 Depth=2
	v_cmp_nlt_f64_e32 vcc_lo, v[72:73], v[14:15]
	v_cmp_ngt_f64_e64 s0, v[74:75], v[14:15]
	s_and_not1_b32 s6, s6, exec_lo
	s_delay_alu instid0(VALU_DEP_1) | instskip(NEXT) | instid1(SALU_CYCLE_1)
	s_or_b32 s0, vcc_lo, s0
	s_and_b32 s8, s0, exec_lo
	s_mov_b32 s0, 6
	s_or_b32 s6, s6, s8
; %bb.236:                              ;   in Loop: Header=BB1_214 Depth=2
	s_or_b32 exec_lo, exec_lo, s7
	v_mov_b32_e32 v13, s0
	s_and_saveexec_b32 s0, s6
; %bb.237:                              ;   in Loop: Header=BB1_214 Depth=2
	v_mov_b32_e32 v13, 7
; %bb.238:                              ;   in Loop: Header=BB1_214 Depth=2
	s_or_b32 exec_lo, exec_lo, s0
.LBB1_239:                              ;   in Loop: Header=BB1_214 Depth=2
	s_delay_alu instid0(SALU_CYCLE_1)
	s_or_b32 exec_lo, exec_lo, s5
.LBB1_240:                              ;   in Loop: Header=BB1_214 Depth=2
	s_delay_alu instid0(SALU_CYCLE_1)
	s_or_b32 exec_lo, exec_lo, s4
.LBB1_241:                              ;   in Loop: Header=BB1_214 Depth=2
	s_delay_alu instid0(SALU_CYCLE_1)
	s_or_b32 exec_lo, exec_lo, s1
.LBB1_242:                              ;   in Loop: Header=BB1_214 Depth=2
	s_delay_alu instid0(SALU_CYCLE_1)
	s_or_b32 exec_lo, exec_lo, s3
.LBB1_243:                              ;   in Loop: Header=BB1_214 Depth=2
	s_delay_alu instid0(SALU_CYCLE_1) | instskip(NEXT) | instid1(SALU_CYCLE_1)
	s_or_b32 exec_lo, exec_lo, s2
	s_mov_b32 s2, exec_lo
	scratch_store_b32 off, v13, off offset:44
	v_cmpx_lt_u32_e32 1, v2
	s_cbranch_execz .LBB1_257
; %bb.244:                              ;   in Loop: Header=BB1_214 Depth=2
	v_cvt_f64_u32_e32 v[16:17], v2
	v_mov_b32_e32 v11, 2
	s_mov_b32 s3, exec_lo
	s_delay_alu instid0(VALU_DEP_2)
	v_cmpx_ngt_f64_e32 v[72:73], v[16:17]
	s_cbranch_execz .LBB1_256
; %bb.245:                              ;   in Loop: Header=BB1_214 Depth=2
	v_cvt_f64_u32_e32 v[14:15], v6
	v_cmp_ngt_f64_e32 vcc_lo, v[74:75], v[16:17]
	v_cmp_nle_f64_e64 s0, v[72:73], v[16:17]
	v_mov_b32_e32 v11, 3
	s_delay_alu instid0(VALU_DEP_4) | instskip(NEXT) | instid1(VALU_DEP_3)
	v_cmp_ngt_f64_e64 s1, v[72:73], v[14:15]
	s_or_b32 s0, vcc_lo, s0
	s_delay_alu instid0(VALU_DEP_1) | instid1(SALU_CYCLE_1)
	s_or_b32 s4, s0, s1
	s_delay_alu instid0(SALU_CYCLE_1)
	s_and_saveexec_b32 s1, s4
	s_cbranch_execz .LBB1_255
; %bb.246:                              ;   in Loop: Header=BB1_214 Depth=2
	v_cmp_nle_f64_e32 vcc_lo, v[72:73], v[14:15]
	v_mov_b32_e32 v11, 4
	s_or_b32 s0, s0, vcc_lo
	s_delay_alu instid0(SALU_CYCLE_1)
	s_and_saveexec_b32 s4, s0
	s_cbranch_execz .LBB1_254
; %bb.247:                              ;   in Loop: Header=BB1_214 Depth=2
	v_cmp_nle_f64_e64 s6, v[74:75], v[16:17]
	v_cmp_ngt_f64_e64 s0, v[72:73], v[14:15]
	v_cmp_le_f64_e32 vcc_lo, v[74:75], v[16:17]
	v_mov_b32_e32 v11, 5
	s_delay_alu instid0(VALU_DEP_3) | instskip(NEXT) | instid1(SALU_CYCLE_1)
	s_or_b32 s0, s6, s0
	s_and_saveexec_b32 s5, s0
	s_cbranch_execz .LBB1_253
; %bb.248:                              ;   in Loop: Header=BB1_214 Depth=2
                                        ; implicit-def: $sgpr0
	s_and_saveexec_b32 s7, vcc_lo
; %bb.249:                              ;   in Loop: Header=BB1_214 Depth=2
	v_cmp_nlt_f64_e32 vcc_lo, v[72:73], v[14:15]
	v_cmp_ngt_f64_e64 s0, v[74:75], v[14:15]
	s_and_not1_b32 s6, s6, exec_lo
	s_delay_alu instid0(VALU_DEP_1) | instskip(NEXT) | instid1(SALU_CYCLE_1)
	s_or_b32 s0, vcc_lo, s0
	s_and_b32 s8, s0, exec_lo
	s_mov_b32 s0, 6
	s_or_b32 s6, s6, s8
; %bb.250:                              ;   in Loop: Header=BB1_214 Depth=2
	s_or_b32 exec_lo, exec_lo, s7
	v_mov_b32_e32 v11, s0
	s_and_saveexec_b32 s0, s6
; %bb.251:                              ;   in Loop: Header=BB1_214 Depth=2
	v_mov_b32_e32 v11, 7
; %bb.252:                              ;   in Loop: Header=BB1_214 Depth=2
	s_or_b32 exec_lo, exec_lo, s0
.LBB1_253:                              ;   in Loop: Header=BB1_214 Depth=2
	s_delay_alu instid0(SALU_CYCLE_1)
	s_or_b32 exec_lo, exec_lo, s5
.LBB1_254:                              ;   in Loop: Header=BB1_214 Depth=2
	s_delay_alu instid0(SALU_CYCLE_1)
	s_or_b32 exec_lo, exec_lo, s4
.LBB1_255:                              ;   in Loop: Header=BB1_214 Depth=2
	s_delay_alu instid0(SALU_CYCLE_1)
	s_or_b32 exec_lo, exec_lo, s1
.LBB1_256:                              ;   in Loop: Header=BB1_214 Depth=2
	s_delay_alu instid0(SALU_CYCLE_1)
	s_or_b32 exec_lo, exec_lo, s3
.LBB1_257:                              ;   in Loop: Header=BB1_214 Depth=2
	s_delay_alu instid0(SALU_CYCLE_1) | instskip(NEXT) | instid1(SALU_CYCLE_1)
	s_or_b32 exec_lo, exec_lo, s2
	s_mov_b32 s2, exec_lo
	scratch_store_b32 off, v11, off offset:60
	v_cmpx_lt_u32_e32 1, v3
	s_cbranch_execz .LBB1_271
; %bb.258:                              ;   in Loop: Header=BB1_214 Depth=2
	v_cvt_f64_u32_e32 v[16:17], v3
	v_mov_b32_e32 v9, 2
	s_mov_b32 s3, exec_lo
	s_delay_alu instid0(VALU_DEP_2)
	v_cmpx_ngt_f64_e32 v[72:73], v[16:17]
	s_cbranch_execz .LBB1_270
; %bb.259:                              ;   in Loop: Header=BB1_214 Depth=2
	v_cvt_f64_u32_e32 v[14:15], v7
	v_cmp_ngt_f64_e32 vcc_lo, v[74:75], v[16:17]
	v_cmp_nle_f64_e64 s0, v[72:73], v[16:17]
	v_mov_b32_e32 v9, 3
	s_delay_alu instid0(VALU_DEP_4) | instskip(NEXT) | instid1(VALU_DEP_3)
	v_cmp_ngt_f64_e64 s1, v[72:73], v[14:15]
	s_or_b32 s0, vcc_lo, s0
	s_delay_alu instid0(VALU_DEP_1) | instid1(SALU_CYCLE_1)
	s_or_b32 s4, s0, s1
	s_delay_alu instid0(SALU_CYCLE_1)
	s_and_saveexec_b32 s1, s4
	s_cbranch_execz .LBB1_269
; %bb.260:                              ;   in Loop: Header=BB1_214 Depth=2
	v_cmp_nle_f64_e32 vcc_lo, v[72:73], v[14:15]
	v_mov_b32_e32 v9, 4
	s_or_b32 s0, s0, vcc_lo
	s_delay_alu instid0(SALU_CYCLE_1)
	s_and_saveexec_b32 s4, s0
	s_cbranch_execz .LBB1_268
; %bb.261:                              ;   in Loop: Header=BB1_214 Depth=2
	v_cmp_nle_f64_e64 s6, v[74:75], v[16:17]
	v_cmp_ngt_f64_e64 s0, v[72:73], v[14:15]
	v_cmp_le_f64_e32 vcc_lo, v[74:75], v[16:17]
	v_mov_b32_e32 v9, 5
	s_delay_alu instid0(VALU_DEP_3) | instskip(NEXT) | instid1(SALU_CYCLE_1)
	s_or_b32 s0, s6, s0
	s_and_saveexec_b32 s5, s0
	s_cbranch_execz .LBB1_267
; %bb.262:                              ;   in Loop: Header=BB1_214 Depth=2
                                        ; implicit-def: $sgpr0
	s_and_saveexec_b32 s7, vcc_lo
; %bb.263:                              ;   in Loop: Header=BB1_214 Depth=2
	v_cmp_nlt_f64_e32 vcc_lo, v[72:73], v[14:15]
	v_cmp_ngt_f64_e64 s0, v[74:75], v[14:15]
	s_and_not1_b32 s6, s6, exec_lo
	s_delay_alu instid0(VALU_DEP_1) | instskip(NEXT) | instid1(SALU_CYCLE_1)
	s_or_b32 s0, vcc_lo, s0
	s_and_b32 s8, s0, exec_lo
	s_mov_b32 s0, 6
	s_or_b32 s6, s6, s8
; %bb.264:                              ;   in Loop: Header=BB1_214 Depth=2
	s_or_b32 exec_lo, exec_lo, s7
	v_mov_b32_e32 v9, s0
	s_and_saveexec_b32 s0, s6
; %bb.265:                              ;   in Loop: Header=BB1_214 Depth=2
	v_mov_b32_e32 v9, 7
; %bb.266:                              ;   in Loop: Header=BB1_214 Depth=2
	s_or_b32 exec_lo, exec_lo, s0
.LBB1_267:                              ;   in Loop: Header=BB1_214 Depth=2
	s_delay_alu instid0(SALU_CYCLE_1)
	s_or_b32 exec_lo, exec_lo, s5
.LBB1_268:                              ;   in Loop: Header=BB1_214 Depth=2
	s_delay_alu instid0(SALU_CYCLE_1)
	s_or_b32 exec_lo, exec_lo, s4
.LBB1_269:                              ;   in Loop: Header=BB1_214 Depth=2
	s_delay_alu instid0(SALU_CYCLE_1)
	s_or_b32 exec_lo, exec_lo, s1
.LBB1_270:                              ;   in Loop: Header=BB1_214 Depth=2
	s_delay_alu instid0(SALU_CYCLE_1)
	s_or_b32 exec_lo, exec_lo, s3
.LBB1_271:                              ;   in Loop: Header=BB1_214 Depth=2
	s_delay_alu instid0(SALU_CYCLE_1) | instskip(NEXT) | instid1(SALU_CYCLE_1)
	s_or_b32 exec_lo, exec_lo, s2
	s_mov_b32 s1, exec_lo
	scratch_store_b32 off, v9, off offset:76
                                        ; implicit-def: $sgpr0
	v_cmpx_ne_u32_e64 v18, v13
	s_xor_b32 s1, exec_lo, s1
	s_cbranch_execnz .LBB1_342
; %bb.272:                              ;   in Loop: Header=BB1_214 Depth=2
	s_and_not1_saveexec_b32 s1, s1
	s_cbranch_execnz .LBB1_343
.LBB1_273:                              ;   in Loop: Header=BB1_214 Depth=2
	s_or_b32 exec_lo, exec_lo, s1
	s_and_saveexec_b32 s1, s0
	s_cbranch_execz .LBB1_275
.LBB1_274:                              ;   in Loop: Header=BB1_214 Depth=2
	scratch_load_b128 v[12:15], v84, off
	scratch_load_b128 v[27:30], off, off offset:16
	s_waitcnt vmcnt(1)
	scratch_store_b128 off, v[12:15], off offset:16
	scratch_load_b32 v18, off, off offset:28
	s_waitcnt vmcnt(1)
	scratch_store_b128 v84, v[27:30], off
.LBB1_275:                              ;   in Loop: Header=BB1_214 Depth=2
	s_or_b32 exec_lo, exec_lo, s1
	s_delay_alu instid0(SALU_CYCLE_1)
	s_mov_b32 s1, exec_lo
                                        ; implicit-def: $sgpr0
	s_waitcnt vmcnt(0)
	v_cmpx_ne_u32_e64 v18, v11
	s_xor_b32 s1, exec_lo, s1
	s_cbranch_execnz .LBB1_348
; %bb.276:                              ;   in Loop: Header=BB1_214 Depth=2
	s_and_not1_saveexec_b32 s1, s1
	s_cbranch_execnz .LBB1_349
.LBB1_277:                              ;   in Loop: Header=BB1_214 Depth=2
	s_or_b32 exec_lo, exec_lo, s1
	s_and_saveexec_b32 s1, s0
	s_cbranch_execz .LBB1_279
.LBB1_278:                              ;   in Loop: Header=BB1_214 Depth=2
	scratch_load_b128 v[10:13], v85, off
	scratch_load_b128 v[14:17], off, off offset:16
	s_waitcnt vmcnt(1)
	scratch_store_b128 off, v[10:13], off offset:16
	scratch_load_b32 v18, off, off offset:28
	s_waitcnt vmcnt(1)
	scratch_store_b128 v85, v[14:17], off
.LBB1_279:                              ;   in Loop: Header=BB1_214 Depth=2
	s_or_b32 exec_lo, exec_lo, s1
	s_delay_alu instid0(SALU_CYCLE_1)
	s_mov_b32 s1, exec_lo
                                        ; implicit-def: $sgpr0
	s_waitcnt vmcnt(0)
	v_cmpx_ne_u32_e64 v18, v9
	s_xor_b32 s1, exec_lo, s1
	s_cbranch_execnz .LBB1_354
; %bb.280:                              ;   in Loop: Header=BB1_214 Depth=2
	s_and_not1_saveexec_b32 s1, s1
	s_cbranch_execnz .LBB1_355
.LBB1_281:                              ;   in Loop: Header=BB1_214 Depth=2
	s_or_b32 exec_lo, exec_lo, s1
	s_and_saveexec_b32 s1, s0
	s_cbranch_execz .LBB1_283
.LBB1_282:                              ;   in Loop: Header=BB1_214 Depth=2
	scratch_load_b128 v[0:3], v86, off
	scratch_load_b128 v[4:7], off, off offset:16
	s_waitcnt vmcnt(1)
	scratch_store_b128 off, v[0:3], off offset:16
	scratch_load_b32 v18, off, off offset:28
	s_waitcnt vmcnt(1)
	scratch_store_b128 v86, v[4:7], off
.LBB1_283:                              ;   in Loop: Header=BB1_214 Depth=2
	s_or_b32 exec_lo, exec_lo, s1
	scratch_load_b32 v0, off, off offset:44
	s_mov_b32 s1, exec_lo
                                        ; implicit-def: $sgpr0
	s_waitcnt vmcnt(0)
	v_cmpx_ne_u32_e64 v0, v18
	s_xor_b32 s1, exec_lo, s1
	s_cbranch_execnz .LBB1_360
; %bb.284:                              ;   in Loop: Header=BB1_214 Depth=2
	s_and_not1_saveexec_b32 s1, s1
	s_cbranch_execnz .LBB1_361
.LBB1_285:                              ;   in Loop: Header=BB1_214 Depth=2
	s_or_b32 exec_lo, exec_lo, s1
	s_and_saveexec_b32 s1, s0
	s_cbranch_execz .LBB1_287
.LBB1_286:                              ;   in Loop: Header=BB1_214 Depth=2
	scratch_load_b128 v[0:3], off, off offset:16
	scratch_load_b128 v[4:7], v84, off
	s_waitcnt vmcnt(1)
	scratch_store_b128 v84, v[0:3], off
	scratch_load_b32 v0, off, off offset:44
	s_waitcnt vmcnt(1)
	scratch_store_b128 off, v[4:7], off offset:16
.LBB1_287:                              ;   in Loop: Header=BB1_214 Depth=2
	s_or_b32 exec_lo, exec_lo, s1
	scratch_load_b32 v1, off, off offset:60
	s_mov_b32 s1, exec_lo
                                        ; implicit-def: $sgpr0
	s_waitcnt vmcnt(0)
	v_cmpx_ne_u32_e64 v0, v1
	s_xor_b32 s1, exec_lo, s1
	s_cbranch_execnz .LBB1_366
; %bb.288:                              ;   in Loop: Header=BB1_214 Depth=2
	s_and_not1_saveexec_b32 s1, s1
	s_cbranch_execnz .LBB1_367
.LBB1_289:                              ;   in Loop: Header=BB1_214 Depth=2
	s_or_b32 exec_lo, exec_lo, s1
	s_and_saveexec_b32 s1, s0
	s_cbranch_execz .LBB1_291
.LBB1_290:                              ;   in Loop: Header=BB1_214 Depth=2
	s_clause 0x1
	scratch_load_b128 v[0:3], v85, off
	scratch_load_b128 v[4:7], v84, off
	s_waitcnt vmcnt(1)
	scratch_store_b128 v84, v[0:3], off
	s_waitcnt vmcnt(0)
	scratch_store_b128 v85, v[4:7], off
	scratch_load_b32 v0, off, off offset:44
.LBB1_291:                              ;   in Loop: Header=BB1_214 Depth=2
	s_or_b32 exec_lo, exec_lo, s1
	scratch_load_b32 v1, off, off offset:76
	s_mov_b32 s1, exec_lo
                                        ; implicit-def: $sgpr0
	s_waitcnt vmcnt(0)
	v_cmpx_ne_u32_e64 v0, v1
	s_xor_b32 s1, exec_lo, s1
	s_cbranch_execnz .LBB1_372
; %bb.292:                              ;   in Loop: Header=BB1_214 Depth=2
	s_and_not1_saveexec_b32 s1, s1
	s_cbranch_execnz .LBB1_373
.LBB1_293:                              ;   in Loop: Header=BB1_214 Depth=2
	s_or_b32 exec_lo, exec_lo, s1
	s_and_saveexec_b32 s1, s0
	s_cbranch_execz .LBB1_295
.LBB1_294:                              ;   in Loop: Header=BB1_214 Depth=2
	s_clause 0x1
	scratch_load_b128 v[0:3], v86, off
	scratch_load_b128 v[4:7], v84, off
	s_waitcnt vmcnt(1)
	scratch_store_b128 v84, v[0:3], off
	s_waitcnt vmcnt(0)
	scratch_store_b128 v86, v[4:7], off
.LBB1_295:                              ;   in Loop: Header=BB1_214 Depth=2
	s_or_b32 exec_lo, exec_lo, s1
	s_clause 0x1
	scratch_load_b32 v1, off, off offset:60
	scratch_load_b32 v0, off, off offset:28
	s_mov_b32 s1, exec_lo
                                        ; implicit-def: $sgpr0
	s_waitcnt vmcnt(0)
	v_cmpx_ne_u32_e64 v1, v0
	s_xor_b32 s1, exec_lo, s1
	s_cbranch_execnz .LBB1_378
; %bb.296:                              ;   in Loop: Header=BB1_214 Depth=2
	s_and_not1_saveexec_b32 s1, s1
	s_cbranch_execnz .LBB1_379
.LBB1_297:                              ;   in Loop: Header=BB1_214 Depth=2
	s_or_b32 exec_lo, exec_lo, s1
	s_and_saveexec_b32 s1, s0
	s_cbranch_execz .LBB1_299
.LBB1_298:                              ;   in Loop: Header=BB1_214 Depth=2
	scratch_load_b128 v[0:3], off, off offset:16
	scratch_load_b128 v[4:7], v85, off
	s_waitcnt vmcnt(1)
	scratch_store_b128 v85, v[0:3], off
	scratch_load_b32 v1, off, off offset:60
	s_waitcnt vmcnt(1)
	scratch_store_b128 off, v[4:7], off offset:16
.LBB1_299:                              ;   in Loop: Header=BB1_214 Depth=2
	s_or_b32 exec_lo, exec_lo, s1
	scratch_load_b32 v0, off, off offset:44
	s_mov_b32 s1, exec_lo
                                        ; implicit-def: $sgpr0
	s_waitcnt vmcnt(0)
	v_cmpx_ne_u32_e64 v1, v0
	s_xor_b32 s1, exec_lo, s1
	s_cbranch_execnz .LBB1_384
; %bb.300:                              ;   in Loop: Header=BB1_214 Depth=2
	s_and_not1_saveexec_b32 s1, s1
	s_cbranch_execnz .LBB1_385
.LBB1_301:                              ;   in Loop: Header=BB1_214 Depth=2
	s_or_b32 exec_lo, exec_lo, s1
	s_and_saveexec_b32 s1, s0
	s_cbranch_execz .LBB1_303
.LBB1_302:                              ;   in Loop: Header=BB1_214 Depth=2
	s_clause 0x1
	scratch_load_b128 v[0:3], v84, off
	scratch_load_b128 v[4:7], v85, off
	s_waitcnt vmcnt(1)
	scratch_store_b128 v85, v[0:3], off
	s_waitcnt vmcnt(0)
	scratch_store_b128 v84, v[4:7], off
	scratch_load_b32 v1, off, off offset:60
.LBB1_303:                              ;   in Loop: Header=BB1_214 Depth=2
	s_or_b32 exec_lo, exec_lo, s1
	scratch_load_b32 v0, off, off offset:76
	s_mov_b32 s1, exec_lo
                                        ; implicit-def: $sgpr0
	s_waitcnt vmcnt(0)
	v_cmpx_ne_u32_e64 v1, v0
	s_xor_b32 s1, exec_lo, s1
	s_cbranch_execnz .LBB1_390
; %bb.304:                              ;   in Loop: Header=BB1_214 Depth=2
	s_and_not1_saveexec_b32 s1, s1
	s_cbranch_execnz .LBB1_391
.LBB1_305:                              ;   in Loop: Header=BB1_214 Depth=2
	s_or_b32 exec_lo, exec_lo, s1
	s_and_saveexec_b32 s1, s0
	s_cbranch_execz .LBB1_307
.LBB1_306:                              ;   in Loop: Header=BB1_214 Depth=2
	s_clause 0x1
	scratch_load_b128 v[0:3], v85, off
	scratch_load_b128 v[4:7], v86, off
	s_waitcnt vmcnt(1)
	scratch_store_b128 v86, v[0:3], off
	s_waitcnt vmcnt(0)
	scratch_store_b128 v85, v[4:7], off
	scratch_load_b32 v0, off, off offset:76
.LBB1_307:                              ;   in Loop: Header=BB1_214 Depth=2
	s_or_b32 exec_lo, exec_lo, s1
	scratch_load_b32 v1, off, off offset:28
	s_mov_b32 s1, exec_lo
                                        ; implicit-def: $sgpr0
	s_waitcnt vmcnt(0)
	v_cmpx_ne_u32_e64 v0, v1
	s_xor_b32 s1, exec_lo, s1
	s_cbranch_execnz .LBB1_396
; %bb.308:                              ;   in Loop: Header=BB1_214 Depth=2
	s_and_not1_saveexec_b32 s1, s1
	s_cbranch_execnz .LBB1_397
.LBB1_309:                              ;   in Loop: Header=BB1_214 Depth=2
	s_or_b32 exec_lo, exec_lo, s1
	s_and_saveexec_b32 s1, s0
	s_cbranch_execz .LBB1_311
.LBB1_310:                              ;   in Loop: Header=BB1_214 Depth=2
	scratch_load_b128 v[0:3], off, off offset:16
	scratch_load_b128 v[4:7], v86, off
	s_waitcnt vmcnt(1)
	scratch_store_b128 v86, v[0:3], off
	scratch_load_b32 v0, off, off offset:76
	s_waitcnt vmcnt(1)
	scratch_store_b128 off, v[4:7], off offset:16
.LBB1_311:                              ;   in Loop: Header=BB1_214 Depth=2
	s_or_b32 exec_lo, exec_lo, s1
	scratch_load_b32 v1, off, off offset:44
	s_mov_b32 s1, exec_lo
                                        ; implicit-def: $sgpr0
	s_waitcnt vmcnt(0)
	v_cmpx_ne_u32_e64 v0, v1
	s_xor_b32 s1, exec_lo, s1
	s_cbranch_execnz .LBB1_402
; %bb.312:                              ;   in Loop: Header=BB1_214 Depth=2
	s_and_not1_saveexec_b32 s1, s1
	s_cbranch_execnz .LBB1_403
.LBB1_313:                              ;   in Loop: Header=BB1_214 Depth=2
	s_or_b32 exec_lo, exec_lo, s1
	s_and_saveexec_b32 s1, s0
	s_cbranch_execz .LBB1_315
.LBB1_314:                              ;   in Loop: Header=BB1_214 Depth=2
	s_clause 0x1
	scratch_load_b128 v[0:3], v84, off
	scratch_load_b128 v[4:7], v86, off
	s_waitcnt vmcnt(1)
	scratch_store_b128 v86, v[0:3], off
	s_waitcnt vmcnt(0)
	scratch_store_b128 v84, v[4:7], off
	scratch_load_b32 v0, off, off offset:76
.LBB1_315:                              ;   in Loop: Header=BB1_214 Depth=2
	s_or_b32 exec_lo, exec_lo, s1
	scratch_load_b32 v1, off, off offset:60
	s_mov_b32 s1, exec_lo
                                        ; implicit-def: $sgpr0
	s_waitcnt vmcnt(0)
	v_cmpx_ne_u32_e64 v0, v1
	s_xor_b32 s1, exec_lo, s1
	s_cbranch_execnz .LBB1_408
; %bb.316:                              ;   in Loop: Header=BB1_214 Depth=2
	s_and_not1_saveexec_b32 s1, s1
	s_cbranch_execnz .LBB1_409
.LBB1_317:                              ;   in Loop: Header=BB1_214 Depth=2
	s_or_b32 exec_lo, exec_lo, s1
	s_and_saveexec_b32 s1, s0
	s_cbranch_execz .LBB1_319
.LBB1_318:                              ;   in Loop: Header=BB1_214 Depth=2
	s_clause 0x1
	scratch_load_b128 v[0:3], v85, off
	scratch_load_b128 v[4:7], v86, off
	s_waitcnt vmcnt(1)
	scratch_store_b128 v86, v[0:3], off
	s_waitcnt vmcnt(0)
	scratch_store_b128 v85, v[4:7], off
.LBB1_319:                              ;   in Loop: Header=BB1_214 Depth=2
	s_or_b32 exec_lo, exec_lo, s1
	s_clause 0x1
	scratch_load_b32 v28, off, off offset:28
	scratch_load_b32 v27, off, off offset:44
	s_mov_b32 s17, exec_lo
	s_waitcnt vmcnt(0)
	v_cmpx_lt_i32_e64 v28, v27
	s_cbranch_execz .LBB1_524
; %bb.320:                              ;   in Loop: Header=BB1_214 Depth=2
	s_load_b64 s[2:3], s[52:53], 0x50
	v_readfirstlane_b32 s0, v91
	v_mov_b32_e32 v4, 0
	v_mov_b32_e32 v5, 0
	s_delay_alu instid0(VALU_DEP_3) | instskip(NEXT) | instid1(VALU_DEP_1)
	v_cmp_eq_u32_e64 s0, s0, v91
	s_and_saveexec_b32 s1, s0
	s_cbranch_execz .LBB1_326
; %bb.321:                              ;   in Loop: Header=BB1_214 Depth=2
	s_waitcnt lgkmcnt(0)
	global_load_b64 v[2:3], v53, s[2:3] offset:24 glc
	s_waitcnt vmcnt(0)
	buffer_gl1_inv
	buffer_gl0_inv
	s_clause 0x1
	global_load_b64 v[0:1], v53, s[2:3] offset:40
	global_load_b64 v[4:5], v53, s[2:3]
	s_mov_b32 s4, exec_lo
	s_waitcnt vmcnt(1)
	v_and_b32_e32 v1, v1, v3
	v_and_b32_e32 v0, v0, v2
	s_delay_alu instid0(VALU_DEP_2) | instskip(NEXT) | instid1(VALU_DEP_2)
	v_mul_lo_u32 v1, v1, 24
	v_mul_hi_u32 v6, v0, 24
	v_mul_lo_u32 v0, v0, 24
	s_delay_alu instid0(VALU_DEP_2) | instskip(SKIP_1) | instid1(VALU_DEP_2)
	v_add_nc_u32_e32 v1, v6, v1
	s_waitcnt vmcnt(0)
	v_add_co_u32 v0, vcc_lo, v4, v0
	s_delay_alu instid0(VALU_DEP_2)
	v_add_co_ci_u32_e32 v1, vcc_lo, v5, v1, vcc_lo
	global_load_b64 v[0:1], v[0:1], off glc
	s_waitcnt vmcnt(0)
	global_atomic_cmpswap_b64 v[4:5], v53, v[0:3], s[2:3] offset:24 glc
	s_waitcnt vmcnt(0)
	buffer_gl1_inv
	buffer_gl0_inv
	v_cmpx_ne_u64_e64 v[4:5], v[2:3]
	s_cbranch_execz .LBB1_325
; %bb.322:                              ;   in Loop: Header=BB1_214 Depth=2
	s_mov_b32 s5, 0
	.p2align	6
.LBB1_323:                              ;   Parent Loop BB1_13 Depth=1
                                        ;     Parent Loop BB1_214 Depth=2
                                        ; =>    This Inner Loop Header: Depth=3
	s_sleep 1
	s_clause 0x1
	global_load_b64 v[0:1], v53, s[2:3] offset:40
	global_load_b64 v[6:7], v53, s[2:3]
	v_dual_mov_b32 v2, v4 :: v_dual_mov_b32 v3, v5
	s_waitcnt vmcnt(1)
	s_delay_alu instid0(VALU_DEP_1) | instskip(NEXT) | instid1(VALU_DEP_2)
	v_and_b32_e32 v0, v0, v2
	v_and_b32_e32 v1, v1, v3
	s_waitcnt vmcnt(0)
	s_delay_alu instid0(VALU_DEP_2) | instskip(NEXT) | instid1(VALU_DEP_1)
	v_mad_u64_u32 v[4:5], null, v0, 24, v[6:7]
	v_mov_b32_e32 v0, v5
	s_delay_alu instid0(VALU_DEP_1)
	v_mad_u64_u32 v[5:6], null, v1, 24, v[0:1]
	global_load_b64 v[0:1], v[4:5], off glc
	s_waitcnt vmcnt(0)
	global_atomic_cmpswap_b64 v[4:5], v53, v[0:3], s[2:3] offset:24 glc
	s_waitcnt vmcnt(0)
	buffer_gl1_inv
	buffer_gl0_inv
	v_cmp_eq_u64_e32 vcc_lo, v[4:5], v[2:3]
	s_or_b32 s5, vcc_lo, s5
	s_delay_alu instid0(SALU_CYCLE_1)
	s_and_not1_b32 exec_lo, exec_lo, s5
	s_cbranch_execnz .LBB1_323
; %bb.324:                              ;   in Loop: Header=BB1_214 Depth=2
	s_or_b32 exec_lo, exec_lo, s5
.LBB1_325:                              ;   in Loop: Header=BB1_214 Depth=2
	s_delay_alu instid0(SALU_CYCLE_1)
	s_or_b32 exec_lo, exec_lo, s4
.LBB1_326:                              ;   in Loop: Header=BB1_214 Depth=2
	s_delay_alu instid0(SALU_CYCLE_1)
	s_or_b32 exec_lo, exec_lo, s1
	s_waitcnt lgkmcnt(0)
	s_clause 0x1
	global_load_b64 v[6:7], v53, s[2:3] offset:40
	global_load_b128 v[0:3], v53, s[2:3]
	v_readfirstlane_b32 s4, v4
	v_readfirstlane_b32 s5, v5
	s_mov_b32 s1, exec_lo
	s_waitcnt vmcnt(1)
	v_readfirstlane_b32 s6, v6
	v_readfirstlane_b32 s7, v7
	s_delay_alu instid0(VALU_DEP_1) | instskip(NEXT) | instid1(SALU_CYCLE_1)
	s_and_b64 s[6:7], s[4:5], s[6:7]
	s_mul_i32 s8, s7, 24
	s_mul_hi_u32 s9, s6, 24
	s_mul_i32 s10, s6, 24
	s_add_i32 s9, s9, s8
	s_waitcnt vmcnt(0)
	v_add_co_u32 v4, vcc_lo, v0, s10
	v_add_co_ci_u32_e32 v5, vcc_lo, s9, v1, vcc_lo
	s_and_saveexec_b32 s8, s0
	s_cbranch_execz .LBB1_328
; %bb.327:                              ;   in Loop: Header=BB1_214 Depth=2
	v_mov_b32_e32 v52, s1
	global_store_b128 v[4:5], v[52:55], off offset:8
.LBB1_328:                              ;   in Loop: Header=BB1_214 Depth=2
	s_or_b32 exec_lo, exec_lo, s8
	s_lshl_b64 s[6:7], s[6:7], 12
	s_mov_b32 s37, s36
	v_add_co_u32 v8, vcc_lo, v2, s6
	v_add_co_ci_u32_e32 v9, vcc_lo, s7, v3, vcc_lo
	s_mov_b32 s38, s36
	s_mov_b32 s39, s36
	v_dual_mov_b32 v58, v53 :: v_dual_lshlrev_b32 v29, 6, v91
	v_dual_mov_b32 v57, v53 :: v_dual_mov_b32 v10, s36
	v_dual_mov_b32 v59, v53 :: v_dual_mov_b32 v12, s38
	v_readfirstlane_b32 s6, v8
	v_readfirstlane_b32 s7, v9
	v_mov_b32_e32 v11, s37
	v_mov_b32_e32 v13, s39
	s_clause 0x3
	global_store_b128 v29, v[56:59], s[6:7]
	global_store_b128 v29, v[10:13], s[6:7] offset:16
	global_store_b128 v29, v[10:13], s[6:7] offset:32
	;; [unrolled: 1-line block ×3, first 2 shown]
	s_and_saveexec_b32 s1, s0
	s_cbranch_execz .LBB1_336
; %bb.329:                              ;   in Loop: Header=BB1_214 Depth=2
	s_clause 0x1
	global_load_b64 v[12:13], v53, s[2:3] offset:32 glc
	global_load_b64 v[2:3], v53, s[2:3] offset:40
	s_mov_b32 s6, exec_lo
	v_dual_mov_b32 v10, s4 :: v_dual_mov_b32 v11, s5
	s_waitcnt vmcnt(0)
	v_and_b32_e32 v3, s5, v3
	v_and_b32_e32 v2, s4, v2
	s_delay_alu instid0(VALU_DEP_2) | instskip(NEXT) | instid1(VALU_DEP_2)
	v_mul_lo_u32 v3, v3, 24
	v_mul_hi_u32 v6, v2, 24
	v_mul_lo_u32 v2, v2, 24
	s_delay_alu instid0(VALU_DEP_2) | instskip(NEXT) | instid1(VALU_DEP_2)
	v_add_nc_u32_e32 v3, v6, v3
	v_add_co_u32 v6, vcc_lo, v0, v2
	s_delay_alu instid0(VALU_DEP_2)
	v_add_co_ci_u32_e32 v7, vcc_lo, v1, v3, vcc_lo
	global_store_b64 v[6:7], v[12:13], off
	s_waitcnt_vscnt null, 0x0
	global_atomic_cmpswap_b64 v[2:3], v53, v[10:13], s[2:3] offset:32 glc
	s_waitcnt vmcnt(0)
	v_cmpx_ne_u64_e64 v[2:3], v[12:13]
	s_cbranch_execz .LBB1_332
; %bb.330:                              ;   in Loop: Header=BB1_214 Depth=2
	s_mov_b32 s7, 0
.LBB1_331:                              ;   Parent Loop BB1_13 Depth=1
                                        ;     Parent Loop BB1_214 Depth=2
                                        ; =>    This Inner Loop Header: Depth=3
	v_dual_mov_b32 v0, s4 :: v_dual_mov_b32 v1, s5
	s_sleep 1
	global_store_b64 v[6:7], v[2:3], off
	s_waitcnt_vscnt null, 0x0
	global_atomic_cmpswap_b64 v[0:1], v53, v[0:3], s[2:3] offset:32 glc
	s_waitcnt vmcnt(0)
	v_cmp_eq_u64_e32 vcc_lo, v[0:1], v[2:3]
	v_dual_mov_b32 v3, v1 :: v_dual_mov_b32 v2, v0
	s_or_b32 s7, vcc_lo, s7
	s_delay_alu instid0(SALU_CYCLE_1)
	s_and_not1_b32 exec_lo, exec_lo, s7
	s_cbranch_execnz .LBB1_331
.LBB1_332:                              ;   in Loop: Header=BB1_214 Depth=2
	s_or_b32 exec_lo, exec_lo, s6
	global_load_b64 v[0:1], v53, s[2:3] offset:16
	s_mov_b32 s7, exec_lo
	s_mov_b32 s6, exec_lo
	v_mbcnt_lo_u32_b32 v2, s7, 0
	s_delay_alu instid0(VALU_DEP_1)
	v_cmpx_eq_u32_e32 0, v2
	s_cbranch_execz .LBB1_334
; %bb.333:                              ;   in Loop: Header=BB1_214 Depth=2
	s_bcnt1_i32_b32 s7, s7
	s_delay_alu instid0(SALU_CYCLE_1)
	v_mov_b32_e32 v52, s7
	s_waitcnt vmcnt(0)
	global_atomic_add_u64 v[0:1], v[52:53], off offset:8
.LBB1_334:                              ;   in Loop: Header=BB1_214 Depth=2
	s_or_b32 exec_lo, exec_lo, s6
	s_waitcnt vmcnt(0)
	global_load_b64 v[2:3], v[0:1], off offset:16
	s_waitcnt vmcnt(0)
	v_cmp_eq_u64_e32 vcc_lo, 0, v[2:3]
	s_cbranch_vccnz .LBB1_336
; %bb.335:                              ;   in Loop: Header=BB1_214 Depth=2
	global_load_b32 v52, v[0:1], off offset:24
	s_waitcnt vmcnt(0)
	v_and_b32_e32 v0, 0xffffff, v52
	s_waitcnt_vscnt null, 0x0
	global_store_b64 v[2:3], v[52:53], off
	v_readfirstlane_b32 m0, v0
	s_sendmsg sendmsg(MSG_INTERRUPT)
.LBB1_336:                              ;   in Loop: Header=BB1_214 Depth=2
	s_or_b32 exec_lo, exec_lo, s1
	v_add_co_u32 v0, vcc_lo, v8, v29
	v_add_co_ci_u32_e32 v1, vcc_lo, 0, v9, vcc_lo
	s_branch .LBB1_340
	.p2align	6
.LBB1_337:                              ;   in Loop: Header=BB1_340 Depth=3
	s_or_b32 exec_lo, exec_lo, s1
	s_delay_alu instid0(VALU_DEP_1) | instskip(NEXT) | instid1(VALU_DEP_1)
	v_readfirstlane_b32 s1, v2
	s_cmp_eq_u32 s1, 0
	s_cbranch_scc1 .LBB1_339
; %bb.338:                              ;   in Loop: Header=BB1_340 Depth=3
	s_sleep 1
	s_cbranch_execnz .LBB1_340
	s_branch .LBB1_414
	.p2align	6
.LBB1_339:                              ;   in Loop: Header=BB1_214 Depth=2
	s_branch .LBB1_414
.LBB1_340:                              ;   Parent Loop BB1_13 Depth=1
                                        ;     Parent Loop BB1_214 Depth=2
                                        ; =>    This Inner Loop Header: Depth=3
	v_mov_b32_e32 v2, 1
	s_and_saveexec_b32 s1, s0
	s_cbranch_execz .LBB1_337
; %bb.341:                              ;   in Loop: Header=BB1_340 Depth=3
	global_load_b32 v2, v[4:5], off offset:20 glc
	s_waitcnt vmcnt(0)
	buffer_gl1_inv
	buffer_gl0_inv
	v_and_b32_e32 v2, 1, v2
	s_branch .LBB1_337
.LBB1_342:                              ;   in Loop: Header=BB1_214 Depth=2
	v_cmp_gt_u32_e32 vcc_lo, v18, v13
	s_and_b32 s0, vcc_lo, exec_lo
	s_and_not1_saveexec_b32 s1, s1
	s_cbranch_execz .LBB1_273
.LBB1_343:                              ;   in Loop: Header=BB1_214 Depth=2
	s_mov_b32 s3, exec_lo
                                        ; implicit-def: $sgpr2
	v_cmpx_ne_u32_e64 v4, v5
	s_xor_b32 s3, exec_lo, s3
; %bb.344:                              ;   in Loop: Header=BB1_214 Depth=2
	v_cmp_gt_u32_e32 vcc_lo, v4, v5
	s_and_b32 s2, vcc_lo, exec_lo
; %bb.345:                              ;   in Loop: Header=BB1_214 Depth=2
	s_and_not1_saveexec_b32 s3, s3
; %bb.346:                              ;   in Loop: Header=BB1_214 Depth=2
	v_cmp_ge_u32_e32 vcc_lo, v0, v1
	s_and_not1_b32 s2, s2, exec_lo
	s_and_b32 s4, vcc_lo, exec_lo
	s_delay_alu instid0(SALU_CYCLE_1)
	s_or_b32 s2, s2, s4
; %bb.347:                              ;   in Loop: Header=BB1_214 Depth=2
	s_or_b32 exec_lo, exec_lo, s3
	s_delay_alu instid0(SALU_CYCLE_1) | instskip(SKIP_1) | instid1(SALU_CYCLE_1)
	s_and_not1_b32 s0, s0, exec_lo
	s_and_b32 s2, s2, exec_lo
	s_or_b32 s0, s0, s2
	s_or_b32 exec_lo, exec_lo, s1
	s_and_saveexec_b32 s1, s0
	s_cbranch_execnz .LBB1_274
	s_branch .LBB1_275
.LBB1_348:                              ;   in Loop: Header=BB1_214 Depth=2
	v_cmp_gt_u32_e32 vcc_lo, v18, v11
	s_and_b32 s0, vcc_lo, exec_lo
	s_and_not1_saveexec_b32 s1, s1
	s_cbranch_execz .LBB1_277
.LBB1_349:                              ;   in Loop: Header=BB1_214 Depth=2
	scratch_load_b32 v0, off, off offset:20
	s_mov_b32 s3, exec_lo
                                        ; implicit-def: $sgpr2
	s_waitcnt vmcnt(0)
	v_cmpx_ne_u32_e64 v0, v6
	s_xor_b32 s3, exec_lo, s3
; %bb.350:                              ;   in Loop: Header=BB1_214 Depth=2
	v_cmp_gt_u32_e32 vcc_lo, v0, v6
	s_and_b32 s2, vcc_lo, exec_lo
; %bb.351:                              ;   in Loop: Header=BB1_214 Depth=2
	s_and_not1_saveexec_b32 s3, s3
	s_cbranch_execz .LBB1_353
; %bb.352:                              ;   in Loop: Header=BB1_214 Depth=2
	scratch_load_b32 v0, off, off offset:24
	s_and_not1_b32 s2, s2, exec_lo
	s_waitcnt vmcnt(0)
	v_cmp_ge_u32_e32 vcc_lo, v0, v2
	s_and_b32 s4, vcc_lo, exec_lo
	s_delay_alu instid0(SALU_CYCLE_1)
	s_or_b32 s2, s2, s4
.LBB1_353:                              ;   in Loop: Header=BB1_214 Depth=2
	s_or_b32 exec_lo, exec_lo, s3
	s_delay_alu instid0(SALU_CYCLE_1) | instskip(SKIP_1) | instid1(SALU_CYCLE_1)
	s_and_not1_b32 s0, s0, exec_lo
	s_and_b32 s2, s2, exec_lo
	s_or_b32 s0, s0, s2
	s_or_b32 exec_lo, exec_lo, s1
	s_and_saveexec_b32 s1, s0
	s_cbranch_execnz .LBB1_278
	s_branch .LBB1_279
.LBB1_354:                              ;   in Loop: Header=BB1_214 Depth=2
	v_cmp_gt_u32_e32 vcc_lo, v18, v9
                                        ; implicit-def: $vgpr0_vgpr1_vgpr2_vgpr3
                                        ; implicit-def: $vgpr4_vgpr5_vgpr6_vgpr7
	s_and_b32 s0, vcc_lo, exec_lo
	s_and_not1_saveexec_b32 s1, s1
	s_cbranch_execz .LBB1_281
.LBB1_355:                              ;   in Loop: Header=BB1_214 Depth=2
	scratch_load_b32 v0, off, off offset:20
	s_mov_b32 s3, exec_lo
                                        ; implicit-def: $sgpr2
	s_waitcnt vmcnt(0)
	v_cmpx_ne_u32_e64 v0, v7
	s_xor_b32 s3, exec_lo, s3
; %bb.356:                              ;   in Loop: Header=BB1_214 Depth=2
	v_cmp_gt_u32_e32 vcc_lo, v0, v7
                                        ; implicit-def: $vgpr0_vgpr1_vgpr2_vgpr3
	s_and_b32 s2, vcc_lo, exec_lo
; %bb.357:                              ;   in Loop: Header=BB1_214 Depth=2
	s_and_not1_saveexec_b32 s3, s3
	s_cbranch_execz .LBB1_359
; %bb.358:                              ;   in Loop: Header=BB1_214 Depth=2
	scratch_load_b32 v0, off, off offset:24
	s_and_not1_b32 s2, s2, exec_lo
	s_waitcnt vmcnt(0)
	v_cmp_ge_u32_e32 vcc_lo, v0, v3
	s_and_b32 s4, vcc_lo, exec_lo
	s_delay_alu instid0(SALU_CYCLE_1)
	s_or_b32 s2, s2, s4
.LBB1_359:                              ;   in Loop: Header=BB1_214 Depth=2
	s_or_b32 exec_lo, exec_lo, s3
	s_delay_alu instid0(SALU_CYCLE_1) | instskip(SKIP_1) | instid1(SALU_CYCLE_1)
	s_and_not1_b32 s0, s0, exec_lo
	s_and_b32 s2, s2, exec_lo
	s_or_b32 s0, s0, s2
	s_or_b32 exec_lo, exec_lo, s1
	s_and_saveexec_b32 s1, s0
	s_cbranch_execnz .LBB1_282
	s_branch .LBB1_283
.LBB1_360:                              ;   in Loop: Header=BB1_214 Depth=2
	v_cmp_gt_u32_e32 vcc_lo, v0, v18
	s_and_b32 s0, vcc_lo, exec_lo
	s_and_not1_saveexec_b32 s1, s1
	s_cbranch_execz .LBB1_285
.LBB1_361:                              ;   in Loop: Header=BB1_214 Depth=2
	s_clause 0x1
	scratch_load_b32 v1, off, off offset:36
	scratch_load_b32 v2, off, off offset:20
	s_mov_b32 s3, exec_lo
                                        ; implicit-def: $sgpr2
	s_waitcnt vmcnt(0)
	v_cmpx_ne_u32_e64 v1, v2
	s_xor_b32 s3, exec_lo, s3
; %bb.362:                              ;   in Loop: Header=BB1_214 Depth=2
	v_cmp_gt_u32_e32 vcc_lo, v1, v2
	s_and_b32 s2, vcc_lo, exec_lo
; %bb.363:                              ;   in Loop: Header=BB1_214 Depth=2
	s_and_not1_saveexec_b32 s3, s3
	s_cbranch_execz .LBB1_365
; %bb.364:                              ;   in Loop: Header=BB1_214 Depth=2
	s_clause 0x1
	scratch_load_b32 v1, off, off offset:40
	scratch_load_b32 v2, off, off offset:24
	s_and_not1_b32 s2, s2, exec_lo
	s_waitcnt vmcnt(0)
	v_cmp_ge_u32_e32 vcc_lo, v1, v2
	s_and_b32 s4, vcc_lo, exec_lo
	s_delay_alu instid0(SALU_CYCLE_1)
	s_or_b32 s2, s2, s4
.LBB1_365:                              ;   in Loop: Header=BB1_214 Depth=2
	s_or_b32 exec_lo, exec_lo, s3
	s_delay_alu instid0(SALU_CYCLE_1) | instskip(SKIP_1) | instid1(SALU_CYCLE_1)
	s_and_not1_b32 s0, s0, exec_lo
	s_and_b32 s2, s2, exec_lo
	s_or_b32 s0, s0, s2
	s_or_b32 exec_lo, exec_lo, s1
	s_and_saveexec_b32 s1, s0
	s_cbranch_execnz .LBB1_286
	s_branch .LBB1_287
.LBB1_366:                              ;   in Loop: Header=BB1_214 Depth=2
	v_cmp_gt_u32_e32 vcc_lo, v0, v1
	s_and_b32 s0, vcc_lo, exec_lo
	s_and_not1_saveexec_b32 s1, s1
	s_cbranch_execz .LBB1_289
.LBB1_367:                              ;   in Loop: Header=BB1_214 Depth=2
	s_clause 0x1
	scratch_load_b32 v1, off, off offset:36
	scratch_load_b32 v2, off, off offset:52
	s_mov_b32 s3, exec_lo
                                        ; implicit-def: $sgpr2
	s_waitcnt vmcnt(0)
	v_cmpx_ne_u32_e64 v1, v2
	s_xor_b32 s3, exec_lo, s3
; %bb.368:                              ;   in Loop: Header=BB1_214 Depth=2
	v_cmp_gt_u32_e32 vcc_lo, v1, v2
	s_and_b32 s2, vcc_lo, exec_lo
; %bb.369:                              ;   in Loop: Header=BB1_214 Depth=2
	s_and_not1_saveexec_b32 s3, s3
	s_cbranch_execz .LBB1_371
; %bb.370:                              ;   in Loop: Header=BB1_214 Depth=2
	s_clause 0x1
	scratch_load_b32 v1, off, off offset:40
	scratch_load_b32 v2, off, off offset:56
	s_and_not1_b32 s2, s2, exec_lo
	s_waitcnt vmcnt(0)
	v_cmp_ge_u32_e32 vcc_lo, v1, v2
	s_and_b32 s4, vcc_lo, exec_lo
	s_delay_alu instid0(SALU_CYCLE_1)
	s_or_b32 s2, s2, s4
.LBB1_371:                              ;   in Loop: Header=BB1_214 Depth=2
	s_or_b32 exec_lo, exec_lo, s3
	s_delay_alu instid0(SALU_CYCLE_1) | instskip(SKIP_1) | instid1(SALU_CYCLE_1)
	s_and_not1_b32 s0, s0, exec_lo
	s_and_b32 s2, s2, exec_lo
	s_or_b32 s0, s0, s2
	s_or_b32 exec_lo, exec_lo, s1
	s_and_saveexec_b32 s1, s0
	s_cbranch_execnz .LBB1_290
	s_branch .LBB1_291
.LBB1_372:                              ;   in Loop: Header=BB1_214 Depth=2
	v_cmp_gt_u32_e32 vcc_lo, v0, v1
	s_and_b32 s0, vcc_lo, exec_lo
	s_and_not1_saveexec_b32 s1, s1
	s_cbranch_execz .LBB1_293
.LBB1_373:                              ;   in Loop: Header=BB1_214 Depth=2
	s_clause 0x1
	scratch_load_b32 v0, off, off offset:36
	scratch_load_b32 v1, off, off offset:68
	s_mov_b32 s3, exec_lo
                                        ; implicit-def: $sgpr2
	s_waitcnt vmcnt(0)
	v_cmpx_ne_u32_e64 v0, v1
	s_xor_b32 s3, exec_lo, s3
; %bb.374:                              ;   in Loop: Header=BB1_214 Depth=2
	v_cmp_gt_u32_e32 vcc_lo, v0, v1
	s_and_b32 s2, vcc_lo, exec_lo
; %bb.375:                              ;   in Loop: Header=BB1_214 Depth=2
	s_and_not1_saveexec_b32 s3, s3
	s_cbranch_execz .LBB1_377
; %bb.376:                              ;   in Loop: Header=BB1_214 Depth=2
	s_clause 0x1
	scratch_load_b32 v0, off, off offset:40
	scratch_load_b32 v1, off, off offset:72
	s_and_not1_b32 s2, s2, exec_lo
	s_waitcnt vmcnt(0)
	v_cmp_ge_u32_e32 vcc_lo, v0, v1
	s_and_b32 s4, vcc_lo, exec_lo
	s_delay_alu instid0(SALU_CYCLE_1)
	s_or_b32 s2, s2, s4
.LBB1_377:                              ;   in Loop: Header=BB1_214 Depth=2
	s_or_b32 exec_lo, exec_lo, s3
	s_delay_alu instid0(SALU_CYCLE_1) | instskip(SKIP_1) | instid1(SALU_CYCLE_1)
	s_and_not1_b32 s0, s0, exec_lo
	s_and_b32 s2, s2, exec_lo
	s_or_b32 s0, s0, s2
	s_or_b32 exec_lo, exec_lo, s1
	s_and_saveexec_b32 s1, s0
	s_cbranch_execnz .LBB1_294
	s_branch .LBB1_295
.LBB1_378:                              ;   in Loop: Header=BB1_214 Depth=2
	v_cmp_gt_u32_e32 vcc_lo, v1, v0
	s_and_b32 s0, vcc_lo, exec_lo
	s_and_not1_saveexec_b32 s1, s1
	s_cbranch_execz .LBB1_297
.LBB1_379:                              ;   in Loop: Header=BB1_214 Depth=2
	s_clause 0x1
	scratch_load_b32 v0, off, off offset:52
	scratch_load_b32 v2, off, off offset:20
	s_mov_b32 s3, exec_lo
                                        ; implicit-def: $sgpr2
	s_waitcnt vmcnt(0)
	v_cmpx_ne_u32_e64 v0, v2
	s_xor_b32 s3, exec_lo, s3
; %bb.380:                              ;   in Loop: Header=BB1_214 Depth=2
	v_cmp_gt_u32_e32 vcc_lo, v0, v2
	s_and_b32 s2, vcc_lo, exec_lo
; %bb.381:                              ;   in Loop: Header=BB1_214 Depth=2
	s_and_not1_saveexec_b32 s3, s3
	s_cbranch_execz .LBB1_383
; %bb.382:                              ;   in Loop: Header=BB1_214 Depth=2
	s_clause 0x1
	scratch_load_b32 v0, off, off offset:56
	scratch_load_b32 v2, off, off offset:24
	s_and_not1_b32 s2, s2, exec_lo
	s_waitcnt vmcnt(0)
	v_cmp_ge_u32_e32 vcc_lo, v0, v2
	s_and_b32 s4, vcc_lo, exec_lo
	s_delay_alu instid0(SALU_CYCLE_1)
	s_or_b32 s2, s2, s4
.LBB1_383:                              ;   in Loop: Header=BB1_214 Depth=2
	s_or_b32 exec_lo, exec_lo, s3
	s_delay_alu instid0(SALU_CYCLE_1) | instskip(SKIP_1) | instid1(SALU_CYCLE_1)
	s_and_not1_b32 s0, s0, exec_lo
	s_and_b32 s2, s2, exec_lo
	s_or_b32 s0, s0, s2
	s_or_b32 exec_lo, exec_lo, s1
	s_and_saveexec_b32 s1, s0
	s_cbranch_execnz .LBB1_298
	s_branch .LBB1_299
.LBB1_384:                              ;   in Loop: Header=BB1_214 Depth=2
	v_cmp_gt_u32_e32 vcc_lo, v1, v0
	s_and_b32 s0, vcc_lo, exec_lo
	s_and_not1_saveexec_b32 s1, s1
	s_cbranch_execz .LBB1_301
.LBB1_385:                              ;   in Loop: Header=BB1_214 Depth=2
	s_clause 0x1
	scratch_load_b32 v0, off, off offset:52
	scratch_load_b32 v2, off, off offset:36
	s_mov_b32 s3, exec_lo
                                        ; implicit-def: $sgpr2
	s_waitcnt vmcnt(0)
	v_cmpx_ne_u32_e64 v0, v2
	s_xor_b32 s3, exec_lo, s3
; %bb.386:                              ;   in Loop: Header=BB1_214 Depth=2
	v_cmp_gt_u32_e32 vcc_lo, v0, v2
	s_and_b32 s2, vcc_lo, exec_lo
; %bb.387:                              ;   in Loop: Header=BB1_214 Depth=2
	s_and_not1_saveexec_b32 s3, s3
	s_cbranch_execz .LBB1_389
; %bb.388:                              ;   in Loop: Header=BB1_214 Depth=2
	s_clause 0x1
	scratch_load_b32 v0, off, off offset:56
	scratch_load_b32 v2, off, off offset:40
	s_and_not1_b32 s2, s2, exec_lo
	s_waitcnt vmcnt(0)
	v_cmp_ge_u32_e32 vcc_lo, v0, v2
	s_and_b32 s4, vcc_lo, exec_lo
	s_delay_alu instid0(SALU_CYCLE_1)
	s_or_b32 s2, s2, s4
.LBB1_389:                              ;   in Loop: Header=BB1_214 Depth=2
	s_or_b32 exec_lo, exec_lo, s3
	s_delay_alu instid0(SALU_CYCLE_1) | instskip(SKIP_1) | instid1(SALU_CYCLE_1)
	s_and_not1_b32 s0, s0, exec_lo
	s_and_b32 s2, s2, exec_lo
	s_or_b32 s0, s0, s2
	s_or_b32 exec_lo, exec_lo, s1
	s_and_saveexec_b32 s1, s0
	s_cbranch_execnz .LBB1_302
	s_branch .LBB1_303
.LBB1_390:                              ;   in Loop: Header=BB1_214 Depth=2
	v_cmp_gt_u32_e32 vcc_lo, v1, v0
	s_and_b32 s0, vcc_lo, exec_lo
	s_and_not1_saveexec_b32 s1, s1
	s_cbranch_execz .LBB1_305
.LBB1_391:                              ;   in Loop: Header=BB1_214 Depth=2
	s_clause 0x1
	scratch_load_b32 v1, off, off offset:52
	scratch_load_b32 v2, off, off offset:68
	s_mov_b32 s3, exec_lo
                                        ; implicit-def: $sgpr2
	s_waitcnt vmcnt(0)
	v_cmpx_ne_u32_e64 v1, v2
	s_xor_b32 s3, exec_lo, s3
; %bb.392:                              ;   in Loop: Header=BB1_214 Depth=2
	v_cmp_gt_u32_e32 vcc_lo, v1, v2
	s_and_b32 s2, vcc_lo, exec_lo
; %bb.393:                              ;   in Loop: Header=BB1_214 Depth=2
	s_and_not1_saveexec_b32 s3, s3
	s_cbranch_execz .LBB1_395
; %bb.394:                              ;   in Loop: Header=BB1_214 Depth=2
	s_clause 0x1
	scratch_load_b32 v1, off, off offset:56
	scratch_load_b32 v2, off, off offset:72
	s_and_not1_b32 s2, s2, exec_lo
	s_waitcnt vmcnt(0)
	v_cmp_ge_u32_e32 vcc_lo, v1, v2
	s_and_b32 s4, vcc_lo, exec_lo
	s_delay_alu instid0(SALU_CYCLE_1)
	s_or_b32 s2, s2, s4
.LBB1_395:                              ;   in Loop: Header=BB1_214 Depth=2
	s_or_b32 exec_lo, exec_lo, s3
	s_delay_alu instid0(SALU_CYCLE_1) | instskip(SKIP_1) | instid1(SALU_CYCLE_1)
	s_and_not1_b32 s0, s0, exec_lo
	s_and_b32 s2, s2, exec_lo
	s_or_b32 s0, s0, s2
	s_or_b32 exec_lo, exec_lo, s1
	s_and_saveexec_b32 s1, s0
	s_cbranch_execnz .LBB1_306
	s_branch .LBB1_307
.LBB1_396:                              ;   in Loop: Header=BB1_214 Depth=2
	v_cmp_gt_u32_e32 vcc_lo, v0, v1
	s_and_b32 s0, vcc_lo, exec_lo
	s_and_not1_saveexec_b32 s1, s1
	s_cbranch_execz .LBB1_309
.LBB1_397:                              ;   in Loop: Header=BB1_214 Depth=2
	s_clause 0x1
	scratch_load_b32 v1, off, off offset:68
	scratch_load_b32 v2, off, off offset:20
	s_mov_b32 s3, exec_lo
                                        ; implicit-def: $sgpr2
	s_waitcnt vmcnt(0)
	v_cmpx_ne_u32_e64 v1, v2
	s_xor_b32 s3, exec_lo, s3
; %bb.398:                              ;   in Loop: Header=BB1_214 Depth=2
	v_cmp_gt_u32_e32 vcc_lo, v1, v2
	s_and_b32 s2, vcc_lo, exec_lo
; %bb.399:                              ;   in Loop: Header=BB1_214 Depth=2
	s_and_not1_saveexec_b32 s3, s3
	s_cbranch_execz .LBB1_401
; %bb.400:                              ;   in Loop: Header=BB1_214 Depth=2
	s_clause 0x1
	scratch_load_b32 v1, off, off offset:72
	scratch_load_b32 v2, off, off offset:24
	s_and_not1_b32 s2, s2, exec_lo
	s_waitcnt vmcnt(0)
	v_cmp_ge_u32_e32 vcc_lo, v1, v2
	s_and_b32 s4, vcc_lo, exec_lo
	s_delay_alu instid0(SALU_CYCLE_1)
	s_or_b32 s2, s2, s4
.LBB1_401:                              ;   in Loop: Header=BB1_214 Depth=2
	s_or_b32 exec_lo, exec_lo, s3
	s_delay_alu instid0(SALU_CYCLE_1) | instskip(SKIP_1) | instid1(SALU_CYCLE_1)
	s_and_not1_b32 s0, s0, exec_lo
	s_and_b32 s2, s2, exec_lo
	s_or_b32 s0, s0, s2
	s_or_b32 exec_lo, exec_lo, s1
	s_and_saveexec_b32 s1, s0
	s_cbranch_execnz .LBB1_310
	s_branch .LBB1_311
.LBB1_402:                              ;   in Loop: Header=BB1_214 Depth=2
	v_cmp_gt_u32_e32 vcc_lo, v0, v1
	s_and_b32 s0, vcc_lo, exec_lo
	s_and_not1_saveexec_b32 s1, s1
	s_cbranch_execz .LBB1_313
.LBB1_403:                              ;   in Loop: Header=BB1_214 Depth=2
	s_clause 0x1
	scratch_load_b32 v1, off, off offset:68
	scratch_load_b32 v2, off, off offset:36
	s_mov_b32 s3, exec_lo
                                        ; implicit-def: $sgpr2
	s_waitcnt vmcnt(0)
	v_cmpx_ne_u32_e64 v1, v2
	s_xor_b32 s3, exec_lo, s3
; %bb.404:                              ;   in Loop: Header=BB1_214 Depth=2
	v_cmp_gt_u32_e32 vcc_lo, v1, v2
	s_and_b32 s2, vcc_lo, exec_lo
; %bb.405:                              ;   in Loop: Header=BB1_214 Depth=2
	s_and_not1_saveexec_b32 s3, s3
	s_cbranch_execz .LBB1_407
; %bb.406:                              ;   in Loop: Header=BB1_214 Depth=2
	s_clause 0x1
	scratch_load_b32 v1, off, off offset:72
	scratch_load_b32 v2, off, off offset:40
	s_and_not1_b32 s2, s2, exec_lo
	s_waitcnt vmcnt(0)
	v_cmp_ge_u32_e32 vcc_lo, v1, v2
	s_and_b32 s4, vcc_lo, exec_lo
	s_delay_alu instid0(SALU_CYCLE_1)
	s_or_b32 s2, s2, s4
.LBB1_407:                              ;   in Loop: Header=BB1_214 Depth=2
	s_or_b32 exec_lo, exec_lo, s3
	s_delay_alu instid0(SALU_CYCLE_1) | instskip(SKIP_1) | instid1(SALU_CYCLE_1)
	s_and_not1_b32 s0, s0, exec_lo
	s_and_b32 s2, s2, exec_lo
	s_or_b32 s0, s0, s2
	s_or_b32 exec_lo, exec_lo, s1
	s_and_saveexec_b32 s1, s0
	s_cbranch_execnz .LBB1_314
	s_branch .LBB1_315
.LBB1_408:                              ;   in Loop: Header=BB1_214 Depth=2
	v_cmp_gt_u32_e32 vcc_lo, v0, v1
	s_and_b32 s0, vcc_lo, exec_lo
	s_and_not1_saveexec_b32 s1, s1
	s_cbranch_execz .LBB1_317
.LBB1_409:                              ;   in Loop: Header=BB1_214 Depth=2
	s_clause 0x1
	scratch_load_b32 v0, off, off offset:68
	scratch_load_b32 v1, off, off offset:52
	s_mov_b32 s3, exec_lo
                                        ; implicit-def: $sgpr2
	s_waitcnt vmcnt(0)
	v_cmpx_ne_u32_e64 v0, v1
	s_xor_b32 s3, exec_lo, s3
; %bb.410:                              ;   in Loop: Header=BB1_214 Depth=2
	v_cmp_gt_u32_e32 vcc_lo, v0, v1
	s_and_b32 s2, vcc_lo, exec_lo
; %bb.411:                              ;   in Loop: Header=BB1_214 Depth=2
	s_and_not1_saveexec_b32 s3, s3
	s_cbranch_execz .LBB1_413
; %bb.412:                              ;   in Loop: Header=BB1_214 Depth=2
	s_clause 0x1
	scratch_load_b32 v0, off, off offset:72
	scratch_load_b32 v1, off, off offset:56
	s_and_not1_b32 s2, s2, exec_lo
	s_waitcnt vmcnt(0)
	v_cmp_ge_u32_e32 vcc_lo, v0, v1
	s_and_b32 s4, vcc_lo, exec_lo
	s_delay_alu instid0(SALU_CYCLE_1)
	s_or_b32 s2, s2, s4
.LBB1_413:                              ;   in Loop: Header=BB1_214 Depth=2
	s_or_b32 exec_lo, exec_lo, s3
	s_delay_alu instid0(SALU_CYCLE_1) | instskip(SKIP_1) | instid1(SALU_CYCLE_1)
	s_and_not1_b32 s0, s0, exec_lo
	s_and_b32 s2, s2, exec_lo
	s_or_b32 s0, s0, s2
	s_or_b32 exec_lo, exec_lo, s1
	s_and_saveexec_b32 s1, s0
	s_cbranch_execnz .LBB1_318
	s_branch .LBB1_319
.LBB1_414:                              ;   in Loop: Header=BB1_214 Depth=2
	global_load_b64 v[0:1], v[0:1], off
	s_and_saveexec_b32 s1, s0
	s_cbranch_execz .LBB1_418
; %bb.415:                              ;   in Loop: Header=BB1_214 Depth=2
	s_clause 0x2
	global_load_b64 v[4:5], v53, s[2:3] offset:40
	global_load_b64 v[8:9], v53, s[2:3] offset:24 glc
	global_load_b64 v[6:7], v53, s[2:3]
	s_waitcnt vmcnt(2)
	v_add_co_u32 v10, vcc_lo, v4, 1
	v_add_co_ci_u32_e32 v11, vcc_lo, 0, v5, vcc_lo
	s_delay_alu instid0(VALU_DEP_2) | instskip(NEXT) | instid1(VALU_DEP_2)
	v_add_co_u32 v2, vcc_lo, v10, s4
	v_add_co_ci_u32_e32 v3, vcc_lo, s5, v11, vcc_lo
	s_delay_alu instid0(VALU_DEP_1) | instskip(SKIP_1) | instid1(VALU_DEP_1)
	v_cmp_eq_u64_e32 vcc_lo, 0, v[2:3]
	v_dual_cndmask_b32 v3, v3, v11 :: v_dual_cndmask_b32 v2, v2, v10
	v_and_b32_e32 v5, v3, v5
	s_delay_alu instid0(VALU_DEP_2) | instskip(NEXT) | instid1(VALU_DEP_1)
	v_and_b32_e32 v4, v2, v4
	v_mul_hi_u32 v10, v4, 24
	v_mul_lo_u32 v4, v4, 24
	s_waitcnt vmcnt(0)
	s_delay_alu instid0(VALU_DEP_1) | instskip(SKIP_2) | instid1(VALU_DEP_1)
	v_add_co_u32 v6, vcc_lo, v6, v4
	v_mov_b32_e32 v4, v8
	v_mul_lo_u32 v5, v5, 24
	v_add_nc_u32_e32 v5, v10, v5
	s_delay_alu instid0(VALU_DEP_1)
	v_add_co_ci_u32_e32 v7, vcc_lo, v7, v5, vcc_lo
	v_mov_b32_e32 v5, v9
	global_store_b64 v[6:7], v[8:9], off
	s_waitcnt_vscnt null, 0x0
	global_atomic_cmpswap_b64 v[4:5], v53, v[2:5], s[2:3] offset:24 glc
	s_waitcnt vmcnt(0)
	v_cmp_ne_u64_e32 vcc_lo, v[4:5], v[8:9]
	s_and_b32 exec_lo, exec_lo, vcc_lo
	s_cbranch_execz .LBB1_418
; %bb.416:                              ;   in Loop: Header=BB1_214 Depth=2
	s_mov_b32 s0, 0
.LBB1_417:                              ;   Parent Loop BB1_13 Depth=1
                                        ;     Parent Loop BB1_214 Depth=2
                                        ; =>    This Inner Loop Header: Depth=3
	s_sleep 1
	global_store_b64 v[6:7], v[4:5], off
	s_waitcnt_vscnt null, 0x0
	global_atomic_cmpswap_b64 v[8:9], v53, v[2:5], s[2:3] offset:24 glc
	s_waitcnt vmcnt(0)
	v_cmp_eq_u64_e32 vcc_lo, v[8:9], v[4:5]
	v_dual_mov_b32 v4, v8 :: v_dual_mov_b32 v5, v9
	s_or_b32 s0, vcc_lo, s0
	s_delay_alu instid0(SALU_CYCLE_1)
	s_and_not1_b32 exec_lo, exec_lo, s0
	s_cbranch_execnz .LBB1_417
.LBB1_418:                              ;   in Loop: Header=BB1_214 Depth=2
	s_or_b32 exec_lo, exec_lo, s1
	s_delay_alu instid0(SALU_CYCLE_1)
	s_and_b32 vcc_lo, exec_lo, s43
	s_cbranch_vccz .LBB1_497
; %bb.419:                              ;   in Loop: Header=BB1_214 Depth=2
	s_waitcnt vmcnt(0)
	v_dual_mov_b32 v3, v1 :: v_dual_and_b32 v2, -3, v0
	s_mov_b64 s[6:7], 53
	s_getpc_b64 s[4:5]
	s_add_u32 s4, s4, .str.4@rel32@lo+4
	s_addc_u32 s5, s5, .str.4@rel32@hi+12
	s_branch .LBB1_421
.LBB1_420:                              ;   in Loop: Header=BB1_421 Depth=3
	s_or_b32 exec_lo, exec_lo, s1
	s_sub_u32 s6, s6, s8
	s_subb_u32 s7, s7, s9
	s_add_u32 s4, s4, s8
	s_addc_u32 s5, s5, s9
	s_cmp_lg_u64 s[6:7], 0
	s_cbranch_scc0 .LBB1_496
.LBB1_421:                              ;   Parent Loop BB1_13 Depth=1
                                        ;     Parent Loop BB1_214 Depth=2
                                        ; =>    This Loop Header: Depth=3
                                        ;         Child Loop BB1_424 Depth 4
                                        ;         Child Loop BB1_431 Depth 4
	;; [unrolled: 1-line block ×11, first 2 shown]
	v_cmp_lt_u64_e64 s0, s[6:7], 56
	v_cmp_gt_u64_e64 s1, s[6:7], 7
	s_delay_alu instid0(VALU_DEP_2) | instskip(SKIP_2) | instid1(VALU_DEP_1)
	s_and_b32 s0, s0, exec_lo
	s_cselect_b32 s9, s7, 0
	s_cselect_b32 s8, s6, 56
	s_and_b32 vcc_lo, exec_lo, s1
	s_cbranch_vccnz .LBB1_426
; %bb.422:                              ;   in Loop: Header=BB1_421 Depth=3
	s_waitcnt vmcnt(0)
	v_mov_b32_e32 v4, 0
	v_mov_b32_e32 v5, 0
	s_cmp_eq_u64 s[6:7], 0
	s_mov_b64 s[0:1], 0
	s_cbranch_scc1 .LBB1_425
; %bb.423:                              ;   in Loop: Header=BB1_421 Depth=3
	v_mov_b32_e32 v4, 0
	v_mov_b32_e32 v5, 0
	s_lshl_b64 s[10:11], s[8:9], 3
	s_mov_b64 s[12:13], s[4:5]
.LBB1_424:                              ;   Parent Loop BB1_13 Depth=1
                                        ;     Parent Loop BB1_214 Depth=2
                                        ;       Parent Loop BB1_421 Depth=3
                                        ; =>      This Inner Loop Header: Depth=4
	global_load_u8 v6, v53, s[12:13]
	s_waitcnt vmcnt(0)
	v_and_b32_e32 v52, 0xffff, v6
	s_delay_alu instid0(VALU_DEP_1)
	v_lshlrev_b64 v[6:7], s0, v[52:53]
	s_add_u32 s0, s0, 8
	s_addc_u32 s1, s1, 0
	s_add_u32 s12, s12, 1
	s_addc_u32 s13, s13, 0
	s_cmp_lg_u32 s10, s0
	v_or_b32_e32 v4, v6, v4
	v_or_b32_e32 v5, v7, v5
	s_cbranch_scc1 .LBB1_424
.LBB1_425:                              ;   in Loop: Header=BB1_421 Depth=3
	s_mov_b32 s18, 0
	s_mov_b64 s[0:1], s[4:5]
	s_cbranch_execz .LBB1_427
	s_branch .LBB1_428
.LBB1_426:                              ;   in Loop: Header=BB1_421 Depth=3
                                        ; implicit-def: $sgpr18
	s_mov_b64 s[0:1], s[4:5]
.LBB1_427:                              ;   in Loop: Header=BB1_421 Depth=3
	global_load_b64 v[4:5], v53, s[4:5]
	s_add_i32 s18, s8, -8
	s_add_u32 s0, s4, 8
	s_addc_u32 s1, s5, 0
.LBB1_428:                              ;   in Loop: Header=BB1_421 Depth=3
	s_cmp_gt_u32 s18, 7
	s_cbranch_scc1 .LBB1_433
; %bb.429:                              ;   in Loop: Header=BB1_421 Depth=3
	v_mov_b32_e32 v6, 0
	v_mov_b32_e32 v7, 0
	s_cmp_eq_u32 s18, 0
	s_cbranch_scc1 .LBB1_432
; %bb.430:                              ;   in Loop: Header=BB1_421 Depth=3
	s_mov_b64 s[10:11], 0
	s_mov_b64 s[12:13], 0
.LBB1_431:                              ;   Parent Loop BB1_13 Depth=1
                                        ;     Parent Loop BB1_214 Depth=2
                                        ;       Parent Loop BB1_421 Depth=3
                                        ; =>      This Inner Loop Header: Depth=4
	s_delay_alu instid0(SALU_CYCLE_1)
	s_add_u32 s20, s0, s12
	s_addc_u32 s21, s1, s13
	s_add_u32 s12, s12, 1
	global_load_u8 v8, v53, s[20:21]
	s_addc_u32 s13, s13, 0
	s_waitcnt vmcnt(0)
	v_and_b32_e32 v52, 0xffff, v8
	s_delay_alu instid0(VALU_DEP_1) | instskip(SKIP_3) | instid1(VALU_DEP_1)
	v_lshlrev_b64 v[8:9], s10, v[52:53]
	s_add_u32 s10, s10, 8
	s_addc_u32 s11, s11, 0
	s_cmp_lg_u32 s18, s12
	v_or_b32_e32 v6, v8, v6
	s_delay_alu instid0(VALU_DEP_2)
	v_or_b32_e32 v7, v9, v7
	s_cbranch_scc1 .LBB1_431
.LBB1_432:                              ;   in Loop: Header=BB1_421 Depth=3
	s_mov_b32 s19, 0
	s_cbranch_execz .LBB1_434
	s_branch .LBB1_435
.LBB1_433:                              ;   in Loop: Header=BB1_421 Depth=3
                                        ; implicit-def: $vgpr6_vgpr7
                                        ; implicit-def: $sgpr19
.LBB1_434:                              ;   in Loop: Header=BB1_421 Depth=3
	global_load_b64 v[6:7], v53, s[0:1]
	s_add_i32 s19, s18, -8
	s_add_u32 s0, s0, 8
	s_addc_u32 s1, s1, 0
.LBB1_435:                              ;   in Loop: Header=BB1_421 Depth=3
	s_cmp_gt_u32 s19, 7
	s_cbranch_scc1 .LBB1_440
; %bb.436:                              ;   in Loop: Header=BB1_421 Depth=3
	v_mov_b32_e32 v8, 0
	v_mov_b32_e32 v9, 0
	s_cmp_eq_u32 s19, 0
	s_cbranch_scc1 .LBB1_439
; %bb.437:                              ;   in Loop: Header=BB1_421 Depth=3
	s_mov_b64 s[10:11], 0
	s_mov_b64 s[12:13], 0
.LBB1_438:                              ;   Parent Loop BB1_13 Depth=1
                                        ;     Parent Loop BB1_214 Depth=2
                                        ;       Parent Loop BB1_421 Depth=3
                                        ; =>      This Inner Loop Header: Depth=4
	s_delay_alu instid0(SALU_CYCLE_1)
	s_add_u32 s20, s0, s12
	s_addc_u32 s21, s1, s13
	s_add_u32 s12, s12, 1
	global_load_u8 v10, v53, s[20:21]
	s_addc_u32 s13, s13, 0
	s_waitcnt vmcnt(0)
	v_and_b32_e32 v52, 0xffff, v10
	s_delay_alu instid0(VALU_DEP_1) | instskip(SKIP_3) | instid1(VALU_DEP_1)
	v_lshlrev_b64 v[10:11], s10, v[52:53]
	s_add_u32 s10, s10, 8
	s_addc_u32 s11, s11, 0
	s_cmp_lg_u32 s19, s12
	v_or_b32_e32 v8, v10, v8
	s_delay_alu instid0(VALU_DEP_2)
	v_or_b32_e32 v9, v11, v9
	s_cbranch_scc1 .LBB1_438
.LBB1_439:                              ;   in Loop: Header=BB1_421 Depth=3
	s_mov_b32 s18, 0
	s_cbranch_execz .LBB1_441
	s_branch .LBB1_442
.LBB1_440:                              ;   in Loop: Header=BB1_421 Depth=3
                                        ; implicit-def: $sgpr18
.LBB1_441:                              ;   in Loop: Header=BB1_421 Depth=3
	global_load_b64 v[8:9], v53, s[0:1]
	s_add_i32 s18, s19, -8
	s_add_u32 s0, s0, 8
	s_addc_u32 s1, s1, 0
.LBB1_442:                              ;   in Loop: Header=BB1_421 Depth=3
	s_cmp_gt_u32 s18, 7
	s_cbranch_scc1 .LBB1_447
; %bb.443:                              ;   in Loop: Header=BB1_421 Depth=3
	v_mov_b32_e32 v10, 0
	v_mov_b32_e32 v11, 0
	s_cmp_eq_u32 s18, 0
	s_cbranch_scc1 .LBB1_446
; %bb.444:                              ;   in Loop: Header=BB1_421 Depth=3
	s_mov_b64 s[10:11], 0
	s_mov_b64 s[12:13], 0
.LBB1_445:                              ;   Parent Loop BB1_13 Depth=1
                                        ;     Parent Loop BB1_214 Depth=2
                                        ;       Parent Loop BB1_421 Depth=3
                                        ; =>      This Inner Loop Header: Depth=4
	s_delay_alu instid0(SALU_CYCLE_1)
	s_add_u32 s20, s0, s12
	s_addc_u32 s21, s1, s13
	s_add_u32 s12, s12, 1
	global_load_u8 v12, v53, s[20:21]
	s_addc_u32 s13, s13, 0
	s_waitcnt vmcnt(0)
	v_and_b32_e32 v52, 0xffff, v12
	s_delay_alu instid0(VALU_DEP_1) | instskip(SKIP_3) | instid1(VALU_DEP_1)
	v_lshlrev_b64 v[12:13], s10, v[52:53]
	s_add_u32 s10, s10, 8
	s_addc_u32 s11, s11, 0
	s_cmp_lg_u32 s18, s12
	v_or_b32_e32 v10, v12, v10
	s_delay_alu instid0(VALU_DEP_2)
	v_or_b32_e32 v11, v13, v11
	s_cbranch_scc1 .LBB1_445
.LBB1_446:                              ;   in Loop: Header=BB1_421 Depth=3
	s_mov_b32 s19, 0
	s_cbranch_execz .LBB1_448
	s_branch .LBB1_449
.LBB1_447:                              ;   in Loop: Header=BB1_421 Depth=3
                                        ; implicit-def: $vgpr10_vgpr11
                                        ; implicit-def: $sgpr19
.LBB1_448:                              ;   in Loop: Header=BB1_421 Depth=3
	global_load_b64 v[10:11], v53, s[0:1]
	s_add_i32 s19, s18, -8
	s_add_u32 s0, s0, 8
	s_addc_u32 s1, s1, 0
.LBB1_449:                              ;   in Loop: Header=BB1_421 Depth=3
	s_cmp_gt_u32 s19, 7
	s_cbranch_scc1 .LBB1_454
; %bb.450:                              ;   in Loop: Header=BB1_421 Depth=3
	v_mov_b32_e32 v12, 0
	v_mov_b32_e32 v13, 0
	s_cmp_eq_u32 s19, 0
	s_cbranch_scc1 .LBB1_453
; %bb.451:                              ;   in Loop: Header=BB1_421 Depth=3
	s_mov_b64 s[10:11], 0
	s_mov_b64 s[12:13], 0
.LBB1_452:                              ;   Parent Loop BB1_13 Depth=1
                                        ;     Parent Loop BB1_214 Depth=2
                                        ;       Parent Loop BB1_421 Depth=3
                                        ; =>      This Inner Loop Header: Depth=4
	s_delay_alu instid0(SALU_CYCLE_1)
	s_add_u32 s20, s0, s12
	s_addc_u32 s21, s1, s13
	s_add_u32 s12, s12, 1
	global_load_u8 v14, v53, s[20:21]
	s_addc_u32 s13, s13, 0
	s_waitcnt vmcnt(0)
	v_and_b32_e32 v52, 0xffff, v14
	s_delay_alu instid0(VALU_DEP_1) | instskip(SKIP_3) | instid1(VALU_DEP_1)
	v_lshlrev_b64 v[14:15], s10, v[52:53]
	s_add_u32 s10, s10, 8
	s_addc_u32 s11, s11, 0
	s_cmp_lg_u32 s19, s12
	v_or_b32_e32 v12, v14, v12
	s_delay_alu instid0(VALU_DEP_2)
	v_or_b32_e32 v13, v15, v13
	s_cbranch_scc1 .LBB1_452
.LBB1_453:                              ;   in Loop: Header=BB1_421 Depth=3
	s_mov_b32 s18, 0
	s_cbranch_execz .LBB1_455
	s_branch .LBB1_456
.LBB1_454:                              ;   in Loop: Header=BB1_421 Depth=3
                                        ; implicit-def: $sgpr18
.LBB1_455:                              ;   in Loop: Header=BB1_421 Depth=3
	global_load_b64 v[12:13], v53, s[0:1]
	s_add_i32 s18, s19, -8
	s_add_u32 s0, s0, 8
	s_addc_u32 s1, s1, 0
.LBB1_456:                              ;   in Loop: Header=BB1_421 Depth=3
	s_cmp_gt_u32 s18, 7
	s_cbranch_scc1 .LBB1_461
; %bb.457:                              ;   in Loop: Header=BB1_421 Depth=3
	v_mov_b32_e32 v14, 0
	v_mov_b32_e32 v15, 0
	s_cmp_eq_u32 s18, 0
	s_cbranch_scc1 .LBB1_460
; %bb.458:                              ;   in Loop: Header=BB1_421 Depth=3
	s_mov_b64 s[10:11], 0
	s_mov_b64 s[12:13], 0
.LBB1_459:                              ;   Parent Loop BB1_13 Depth=1
                                        ;     Parent Loop BB1_214 Depth=2
                                        ;       Parent Loop BB1_421 Depth=3
                                        ; =>      This Inner Loop Header: Depth=4
	s_delay_alu instid0(SALU_CYCLE_1)
	s_add_u32 s20, s0, s12
	s_addc_u32 s21, s1, s13
	s_add_u32 s12, s12, 1
	global_load_u8 v16, v53, s[20:21]
	s_addc_u32 s13, s13, 0
	s_waitcnt vmcnt(0)
	v_and_b32_e32 v52, 0xffff, v16
	s_delay_alu instid0(VALU_DEP_1) | instskip(SKIP_3) | instid1(VALU_DEP_1)
	v_lshlrev_b64 v[16:17], s10, v[52:53]
	s_add_u32 s10, s10, 8
	s_addc_u32 s11, s11, 0
	s_cmp_lg_u32 s18, s12
	v_or_b32_e32 v14, v16, v14
	s_delay_alu instid0(VALU_DEP_2)
	v_or_b32_e32 v15, v17, v15
	s_cbranch_scc1 .LBB1_459
.LBB1_460:                              ;   in Loop: Header=BB1_421 Depth=3
	s_mov_b32 s19, 0
	s_cbranch_execz .LBB1_462
	s_branch .LBB1_463
.LBB1_461:                              ;   in Loop: Header=BB1_421 Depth=3
                                        ; implicit-def: $vgpr14_vgpr15
                                        ; implicit-def: $sgpr19
.LBB1_462:                              ;   in Loop: Header=BB1_421 Depth=3
	global_load_b64 v[14:15], v53, s[0:1]
	s_add_i32 s19, s18, -8
	s_add_u32 s0, s0, 8
	s_addc_u32 s1, s1, 0
.LBB1_463:                              ;   in Loop: Header=BB1_421 Depth=3
	s_cmp_gt_u32 s19, 7
	s_cbranch_scc1 .LBB1_468
; %bb.464:                              ;   in Loop: Header=BB1_421 Depth=3
	v_mov_b32_e32 v16, 0
	v_mov_b32_e32 v17, 0
	s_cmp_eq_u32 s19, 0
	s_cbranch_scc1 .LBB1_467
; %bb.465:                              ;   in Loop: Header=BB1_421 Depth=3
	s_mov_b64 s[10:11], 0
	s_mov_b64 s[12:13], s[0:1]
.LBB1_466:                              ;   Parent Loop BB1_13 Depth=1
                                        ;     Parent Loop BB1_214 Depth=2
                                        ;       Parent Loop BB1_421 Depth=3
                                        ; =>      This Inner Loop Header: Depth=4
	global_load_u8 v18, v53, s[12:13]
	s_add_i32 s19, s19, -1
	s_waitcnt vmcnt(0)
	v_and_b32_e32 v52, 0xffff, v18
	s_delay_alu instid0(VALU_DEP_1)
	v_lshlrev_b64 v[18:19], s10, v[52:53]
	s_add_u32 s10, s10, 8
	s_addc_u32 s11, s11, 0
	s_add_u32 s12, s12, 1
	s_addc_u32 s13, s13, 0
	s_cmp_lg_u32 s19, 0
	v_or_b32_e32 v16, v18, v16
	v_or_b32_e32 v17, v19, v17
	s_cbranch_scc1 .LBB1_466
.LBB1_467:                              ;   in Loop: Header=BB1_421 Depth=3
	s_cbranch_execz .LBB1_469
	s_branch .LBB1_470
.LBB1_468:                              ;   in Loop: Header=BB1_421 Depth=3
.LBB1_469:                              ;   in Loop: Header=BB1_421 Depth=3
	global_load_b64 v[16:17], v53, s[0:1]
.LBB1_470:                              ;   in Loop: Header=BB1_421 Depth=3
	v_readfirstlane_b32 s0, v91
	v_mov_b32_e32 v24, 0
	v_mov_b32_e32 v25, 0
	s_delay_alu instid0(VALU_DEP_3) | instskip(NEXT) | instid1(VALU_DEP_1)
	v_cmp_eq_u32_e64 s0, s0, v91
	s_and_saveexec_b32 s1, s0
	s_cbranch_execz .LBB1_476
; %bb.471:                              ;   in Loop: Header=BB1_421 Depth=3
	global_load_b64 v[20:21], v53, s[2:3] offset:24 glc
	s_waitcnt vmcnt(0)
	buffer_gl1_inv
	buffer_gl0_inv
	s_clause 0x1
	global_load_b64 v[18:19], v53, s[2:3] offset:40
	global_load_b64 v[24:25], v53, s[2:3]
	s_mov_b32 s10, exec_lo
	s_waitcnt vmcnt(1)
	v_and_b32_e32 v19, v19, v21
	v_and_b32_e32 v18, v18, v20
	s_delay_alu instid0(VALU_DEP_2) | instskip(NEXT) | instid1(VALU_DEP_2)
	v_mul_lo_u32 v19, v19, 24
	v_mul_hi_u32 v30, v18, 24
	v_mul_lo_u32 v18, v18, 24
	s_delay_alu instid0(VALU_DEP_2) | instskip(SKIP_1) | instid1(VALU_DEP_2)
	v_add_nc_u32_e32 v19, v30, v19
	s_waitcnt vmcnt(0)
	v_add_co_u32 v18, vcc_lo, v24, v18
	s_delay_alu instid0(VALU_DEP_2)
	v_add_co_ci_u32_e32 v19, vcc_lo, v25, v19, vcc_lo
	global_load_b64 v[18:19], v[18:19], off glc
	s_waitcnt vmcnt(0)
	global_atomic_cmpswap_b64 v[24:25], v53, v[18:21], s[2:3] offset:24 glc
	s_waitcnt vmcnt(0)
	buffer_gl1_inv
	buffer_gl0_inv
	v_cmpx_ne_u64_e64 v[24:25], v[20:21]
	s_cbranch_execz .LBB1_475
; %bb.472:                              ;   in Loop: Header=BB1_421 Depth=3
	s_mov_b32 s11, 0
	.p2align	6
.LBB1_473:                              ;   Parent Loop BB1_13 Depth=1
                                        ;     Parent Loop BB1_214 Depth=2
                                        ;       Parent Loop BB1_421 Depth=3
                                        ; =>      This Inner Loop Header: Depth=4
	s_sleep 1
	s_clause 0x1
	global_load_b64 v[18:19], v53, s[2:3] offset:40
	global_load_b64 v[30:31], v53, s[2:3]
	v_dual_mov_b32 v20, v24 :: v_dual_mov_b32 v21, v25
	s_waitcnt vmcnt(1)
	s_delay_alu instid0(VALU_DEP_1) | instskip(SKIP_1) | instid1(VALU_DEP_1)
	v_and_b32_e32 v18, v18, v20
	s_waitcnt vmcnt(0)
	v_mad_u64_u32 v[24:25], null, v18, 24, v[30:31]
	s_delay_alu instid0(VALU_DEP_1) | instskip(NEXT) | instid1(VALU_DEP_1)
	v_dual_mov_b32 v18, v25 :: v_dual_and_b32 v19, v19, v21
	v_mad_u64_u32 v[30:31], null, v19, 24, v[18:19]
	s_delay_alu instid0(VALU_DEP_1)
	v_mov_b32_e32 v25, v30
	global_load_b64 v[18:19], v[24:25], off glc
	s_waitcnt vmcnt(0)
	global_atomic_cmpswap_b64 v[24:25], v53, v[18:21], s[2:3] offset:24 glc
	s_waitcnt vmcnt(0)
	buffer_gl1_inv
	buffer_gl0_inv
	v_cmp_eq_u64_e32 vcc_lo, v[24:25], v[20:21]
	s_or_b32 s11, vcc_lo, s11
	s_delay_alu instid0(SALU_CYCLE_1)
	s_and_not1_b32 exec_lo, exec_lo, s11
	s_cbranch_execnz .LBB1_473
; %bb.474:                              ;   in Loop: Header=BB1_421 Depth=3
	s_or_b32 exec_lo, exec_lo, s11
.LBB1_475:                              ;   in Loop: Header=BB1_421 Depth=3
	s_delay_alu instid0(SALU_CYCLE_1)
	s_or_b32 exec_lo, exec_lo, s10
.LBB1_476:                              ;   in Loop: Header=BB1_421 Depth=3
	s_delay_alu instid0(SALU_CYCLE_1)
	s_or_b32 exec_lo, exec_lo, s1
	s_clause 0x1
	global_load_b64 v[30:31], v53, s[2:3] offset:40
	global_load_b128 v[18:21], v53, s[2:3]
	v_readfirstlane_b32 s10, v24
	v_readfirstlane_b32 s11, v25
	s_mov_b32 s1, exec_lo
	s_waitcnt vmcnt(1)
	v_readfirstlane_b32 s12, v30
	v_readfirstlane_b32 s13, v31
	s_delay_alu instid0(VALU_DEP_1) | instskip(NEXT) | instid1(SALU_CYCLE_1)
	s_and_b64 s[12:13], s[10:11], s[12:13]
	s_mul_i32 s18, s13, 24
	s_mul_hi_u32 s19, s12, 24
	s_mul_i32 s20, s12, 24
	s_add_i32 s19, s19, s18
	s_waitcnt vmcnt(0)
	v_add_co_u32 v24, vcc_lo, v18, s20
	v_add_co_ci_u32_e32 v25, vcc_lo, s19, v19, vcc_lo
	s_and_saveexec_b32 s18, s0
	s_cbranch_execz .LBB1_478
; %bb.477:                              ;   in Loop: Header=BB1_421 Depth=3
	v_mov_b32_e32 v52, s1
	global_store_b128 v[24:25], v[52:55], off offset:8
.LBB1_478:                              ;   in Loop: Header=BB1_421 Depth=3
	s_or_b32 exec_lo, exec_lo, s18
	s_lshl_b64 s[12:13], s[12:13], 12
	v_or_b32_e32 v30, 2, v2
	v_add_co_u32 v20, vcc_lo, v20, s12
	v_add_co_ci_u32_e32 v21, vcc_lo, s13, v21, vcc_lo
	v_cmp_gt_u64_e64 vcc_lo, s[6:7], 56
	s_lshl_b32 s1, s8, 2
	s_delay_alu instid0(VALU_DEP_3) | instskip(SKIP_4) | instid1(VALU_DEP_1)
	v_readfirstlane_b32 s12, v20
	s_add_i32 s1, s1, 28
	v_readfirstlane_b32 s13, v21
	s_and_b32 s1, s1, 0x1e0
	v_cndmask_b32_e32 v2, v30, v2, vcc_lo
	v_and_or_b32 v2, 0xffffff1f, v2, s1
	s_clause 0x3
	global_store_b128 v29, v[2:5], s[12:13]
	global_store_b128 v29, v[6:9], s[12:13] offset:16
	global_store_b128 v29, v[10:13], s[12:13] offset:32
	;; [unrolled: 1-line block ×3, first 2 shown]
	s_and_saveexec_b32 s1, s0
	s_cbranch_execz .LBB1_486
; %bb.479:                              ;   in Loop: Header=BB1_421 Depth=3
	s_clause 0x1
	global_load_b64 v[10:11], v53, s[2:3] offset:32 glc
	global_load_b64 v[2:3], v53, s[2:3] offset:40
	v_dual_mov_b32 v8, s10 :: v_dual_mov_b32 v9, s11
	s_waitcnt vmcnt(0)
	v_readfirstlane_b32 s12, v2
	v_readfirstlane_b32 s13, v3
	s_delay_alu instid0(VALU_DEP_1) | instskip(NEXT) | instid1(SALU_CYCLE_1)
	s_and_b64 s[12:13], s[12:13], s[10:11]
	s_mul_i32 s13, s13, 24
	s_mul_hi_u32 s18, s12, 24
	s_mul_i32 s12, s12, 24
	s_add_i32 s18, s18, s13
	v_add_co_u32 v6, vcc_lo, v18, s12
	v_add_co_ci_u32_e32 v7, vcc_lo, s18, v19, vcc_lo
	s_mov_b32 s12, exec_lo
	global_store_b64 v[6:7], v[10:11], off
	s_waitcnt_vscnt null, 0x0
	global_atomic_cmpswap_b64 v[4:5], v53, v[8:11], s[2:3] offset:32 glc
	s_waitcnt vmcnt(0)
	v_cmpx_ne_u64_e64 v[4:5], v[10:11]
	s_cbranch_execz .LBB1_482
; %bb.480:                              ;   in Loop: Header=BB1_421 Depth=3
	s_mov_b32 s13, 0
.LBB1_481:                              ;   Parent Loop BB1_13 Depth=1
                                        ;     Parent Loop BB1_214 Depth=2
                                        ;       Parent Loop BB1_421 Depth=3
                                        ; =>      This Inner Loop Header: Depth=4
	v_dual_mov_b32 v2, s10 :: v_dual_mov_b32 v3, s11
	s_sleep 1
	global_store_b64 v[6:7], v[4:5], off
	s_waitcnt_vscnt null, 0x0
	global_atomic_cmpswap_b64 v[2:3], v53, v[2:5], s[2:3] offset:32 glc
	s_waitcnt vmcnt(0)
	v_cmp_eq_u64_e32 vcc_lo, v[2:3], v[4:5]
	v_dual_mov_b32 v5, v3 :: v_dual_mov_b32 v4, v2
	s_or_b32 s13, vcc_lo, s13
	s_delay_alu instid0(SALU_CYCLE_1)
	s_and_not1_b32 exec_lo, exec_lo, s13
	s_cbranch_execnz .LBB1_481
.LBB1_482:                              ;   in Loop: Header=BB1_421 Depth=3
	s_or_b32 exec_lo, exec_lo, s12
	global_load_b64 v[2:3], v53, s[2:3] offset:16
	s_mov_b32 s13, exec_lo
	s_mov_b32 s12, exec_lo
	v_mbcnt_lo_u32_b32 v4, s13, 0
	s_delay_alu instid0(VALU_DEP_1)
	v_cmpx_eq_u32_e32 0, v4
	s_cbranch_execz .LBB1_484
; %bb.483:                              ;   in Loop: Header=BB1_421 Depth=3
	s_bcnt1_i32_b32 s13, s13
	s_delay_alu instid0(SALU_CYCLE_1)
	v_mov_b32_e32 v52, s13
	s_waitcnt vmcnt(0)
	global_atomic_add_u64 v[2:3], v[52:53], off offset:8
.LBB1_484:                              ;   in Loop: Header=BB1_421 Depth=3
	s_or_b32 exec_lo, exec_lo, s12
	s_waitcnt vmcnt(0)
	global_load_b64 v[4:5], v[2:3], off offset:16
	s_waitcnt vmcnt(0)
	v_cmp_eq_u64_e32 vcc_lo, 0, v[4:5]
	s_cbranch_vccnz .LBB1_486
; %bb.485:                              ;   in Loop: Header=BB1_421 Depth=3
	global_load_b32 v52, v[2:3], off offset:24
	s_waitcnt vmcnt(0)
	v_and_b32_e32 v2, 0xffffff, v52
	s_waitcnt_vscnt null, 0x0
	global_store_b64 v[4:5], v[52:53], off
	v_readfirstlane_b32 m0, v2
	s_sendmsg sendmsg(MSG_INTERRUPT)
.LBB1_486:                              ;   in Loop: Header=BB1_421 Depth=3
	s_or_b32 exec_lo, exec_lo, s1
	v_add_co_u32 v2, vcc_lo, v20, v29
	v_add_co_ci_u32_e32 v3, vcc_lo, 0, v21, vcc_lo
	s_branch .LBB1_490
	.p2align	6
.LBB1_487:                              ;   in Loop: Header=BB1_490 Depth=4
	s_or_b32 exec_lo, exec_lo, s1
	s_delay_alu instid0(VALU_DEP_1) | instskip(NEXT) | instid1(VALU_DEP_1)
	v_readfirstlane_b32 s1, v4
	s_cmp_eq_u32 s1, 0
	s_cbranch_scc1 .LBB1_489
; %bb.488:                              ;   in Loop: Header=BB1_490 Depth=4
	s_sleep 1
	s_cbranch_execnz .LBB1_490
	s_branch .LBB1_492
	.p2align	6
.LBB1_489:                              ;   in Loop: Header=BB1_421 Depth=3
	s_branch .LBB1_492
.LBB1_490:                              ;   Parent Loop BB1_13 Depth=1
                                        ;     Parent Loop BB1_214 Depth=2
                                        ;       Parent Loop BB1_421 Depth=3
                                        ; =>      This Inner Loop Header: Depth=4
	v_mov_b32_e32 v4, 1
	s_and_saveexec_b32 s1, s0
	s_cbranch_execz .LBB1_487
; %bb.491:                              ;   in Loop: Header=BB1_490 Depth=4
	global_load_b32 v4, v[24:25], off offset:20 glc
	s_waitcnt vmcnt(0)
	buffer_gl1_inv
	buffer_gl0_inv
	v_and_b32_e32 v4, 1, v4
	s_branch .LBB1_487
.LBB1_492:                              ;   in Loop: Header=BB1_421 Depth=3
	global_load_b128 v[2:5], v[2:3], off
	s_and_saveexec_b32 s1, s0
	s_cbranch_execz .LBB1_420
; %bb.493:                              ;   in Loop: Header=BB1_421 Depth=3
	s_clause 0x2
	global_load_b64 v[6:7], v53, s[2:3] offset:40
	global_load_b64 v[10:11], v53, s[2:3] offset:24 glc
	global_load_b64 v[8:9], v53, s[2:3]
	s_waitcnt vmcnt(2)
	v_add_co_u32 v12, vcc_lo, v6, 1
	v_add_co_ci_u32_e32 v13, vcc_lo, 0, v7, vcc_lo
	s_delay_alu instid0(VALU_DEP_2) | instskip(NEXT) | instid1(VALU_DEP_2)
	v_add_co_u32 v4, vcc_lo, v12, s10
	v_add_co_ci_u32_e32 v5, vcc_lo, s11, v13, vcc_lo
	s_delay_alu instid0(VALU_DEP_1) | instskip(SKIP_1) | instid1(VALU_DEP_1)
	v_cmp_eq_u64_e32 vcc_lo, 0, v[4:5]
	v_dual_cndmask_b32 v5, v5, v13 :: v_dual_cndmask_b32 v4, v4, v12
	v_and_b32_e32 v7, v5, v7
	s_delay_alu instid0(VALU_DEP_2) | instskip(NEXT) | instid1(VALU_DEP_1)
	v_and_b32_e32 v6, v4, v6
	v_mul_hi_u32 v12, v6, 24
	v_mul_lo_u32 v6, v6, 24
	s_waitcnt vmcnt(0)
	s_delay_alu instid0(VALU_DEP_1) | instskip(SKIP_2) | instid1(VALU_DEP_1)
	v_add_co_u32 v8, vcc_lo, v8, v6
	v_mov_b32_e32 v6, v10
	v_mul_lo_u32 v7, v7, 24
	v_add_nc_u32_e32 v7, v12, v7
	s_delay_alu instid0(VALU_DEP_1)
	v_add_co_ci_u32_e32 v9, vcc_lo, v9, v7, vcc_lo
	v_mov_b32_e32 v7, v11
	global_store_b64 v[8:9], v[10:11], off
	s_waitcnt_vscnt null, 0x0
	global_atomic_cmpswap_b64 v[6:7], v53, v[4:7], s[2:3] offset:24 glc
	s_waitcnt vmcnt(0)
	v_cmp_ne_u64_e32 vcc_lo, v[6:7], v[10:11]
	s_and_b32 exec_lo, exec_lo, vcc_lo
	s_cbranch_execz .LBB1_420
; %bb.494:                              ;   in Loop: Header=BB1_421 Depth=3
	s_mov_b32 s0, 0
.LBB1_495:                              ;   Parent Loop BB1_13 Depth=1
                                        ;     Parent Loop BB1_214 Depth=2
                                        ;       Parent Loop BB1_421 Depth=3
                                        ; =>      This Inner Loop Header: Depth=4
	s_sleep 1
	global_store_b64 v[8:9], v[6:7], off
	s_waitcnt_vscnt null, 0x0
	global_atomic_cmpswap_b64 v[10:11], v53, v[4:7], s[2:3] offset:24 glc
	s_waitcnt vmcnt(0)
	v_cmp_eq_u64_e32 vcc_lo, v[10:11], v[6:7]
	v_dual_mov_b32 v6, v10 :: v_dual_mov_b32 v7, v11
	s_or_b32 s0, vcc_lo, s0
	s_delay_alu instid0(SALU_CYCLE_1)
	s_and_not1_b32 exec_lo, exec_lo, s0
	s_cbranch_execnz .LBB1_495
	s_branch .LBB1_420
.LBB1_496:                              ;   in Loop: Header=BB1_214 Depth=2
	s_branch .LBB1_524
.LBB1_497:                              ;   in Loop: Header=BB1_214 Depth=2
	s_cbranch_execz .LBB1_524
; %bb.498:                              ;   in Loop: Header=BB1_214 Depth=2
	v_readfirstlane_b32 s0, v91
	s_waitcnt vmcnt(0)
	v_mov_b32_e32 v2, 0
	v_mov_b32_e32 v3, 0
	s_delay_alu instid0(VALU_DEP_3) | instskip(NEXT) | instid1(VALU_DEP_1)
	v_cmp_eq_u32_e64 s0, s0, v91
	s_and_saveexec_b32 s1, s0
	s_cbranch_execz .LBB1_504
; %bb.499:                              ;   in Loop: Header=BB1_214 Depth=2
	global_load_b64 v[4:5], v53, s[2:3] offset:24 glc
	s_waitcnt vmcnt(0)
	buffer_gl1_inv
	buffer_gl0_inv
	s_clause 0x1
	global_load_b64 v[2:3], v53, s[2:3] offset:40
	global_load_b64 v[6:7], v53, s[2:3]
	s_mov_b32 s4, exec_lo
	s_waitcnt vmcnt(1)
	v_and_b32_e32 v3, v3, v5
	v_and_b32_e32 v2, v2, v4
	s_delay_alu instid0(VALU_DEP_2) | instskip(NEXT) | instid1(VALU_DEP_2)
	v_mul_lo_u32 v3, v3, 24
	v_mul_hi_u32 v8, v2, 24
	v_mul_lo_u32 v2, v2, 24
	s_delay_alu instid0(VALU_DEP_2) | instskip(SKIP_1) | instid1(VALU_DEP_2)
	v_add_nc_u32_e32 v3, v8, v3
	s_waitcnt vmcnt(0)
	v_add_co_u32 v2, vcc_lo, v6, v2
	s_delay_alu instid0(VALU_DEP_2)
	v_add_co_ci_u32_e32 v3, vcc_lo, v7, v3, vcc_lo
	global_load_b64 v[2:3], v[2:3], off glc
	s_waitcnt vmcnt(0)
	global_atomic_cmpswap_b64 v[2:3], v53, v[2:5], s[2:3] offset:24 glc
	s_waitcnt vmcnt(0)
	buffer_gl1_inv
	buffer_gl0_inv
	v_cmpx_ne_u64_e64 v[2:3], v[4:5]
	s_cbranch_execz .LBB1_503
; %bb.500:                              ;   in Loop: Header=BB1_214 Depth=2
	s_mov_b32 s5, 0
	.p2align	6
.LBB1_501:                              ;   Parent Loop BB1_13 Depth=1
                                        ;     Parent Loop BB1_214 Depth=2
                                        ; =>    This Inner Loop Header: Depth=3
	s_sleep 1
	s_clause 0x1
	global_load_b64 v[6:7], v53, s[2:3] offset:40
	global_load_b64 v[8:9], v53, s[2:3]
	v_dual_mov_b32 v5, v3 :: v_dual_mov_b32 v4, v2
	s_waitcnt vmcnt(1)
	s_delay_alu instid0(VALU_DEP_1) | instskip(SKIP_1) | instid1(VALU_DEP_1)
	v_and_b32_e32 v6, v6, v4
	s_waitcnt vmcnt(0)
	v_mad_u64_u32 v[2:3], null, v6, 24, v[8:9]
	v_and_b32_e32 v8, v7, v5
	s_delay_alu instid0(VALU_DEP_1) | instskip(NEXT) | instid1(VALU_DEP_1)
	v_mad_u64_u32 v[6:7], null, v8, 24, v[3:4]
	v_mov_b32_e32 v3, v6
	global_load_b64 v[2:3], v[2:3], off glc
	s_waitcnt vmcnt(0)
	global_atomic_cmpswap_b64 v[2:3], v53, v[2:5], s[2:3] offset:24 glc
	s_waitcnt vmcnt(0)
	buffer_gl1_inv
	buffer_gl0_inv
	v_cmp_eq_u64_e32 vcc_lo, v[2:3], v[4:5]
	s_or_b32 s5, vcc_lo, s5
	s_delay_alu instid0(SALU_CYCLE_1)
	s_and_not1_b32 exec_lo, exec_lo, s5
	s_cbranch_execnz .LBB1_501
; %bb.502:                              ;   in Loop: Header=BB1_214 Depth=2
	s_or_b32 exec_lo, exec_lo, s5
.LBB1_503:                              ;   in Loop: Header=BB1_214 Depth=2
	s_delay_alu instid0(SALU_CYCLE_1)
	s_or_b32 exec_lo, exec_lo, s4
.LBB1_504:                              ;   in Loop: Header=BB1_214 Depth=2
	s_delay_alu instid0(SALU_CYCLE_1)
	s_or_b32 exec_lo, exec_lo, s1
	s_clause 0x1
	global_load_b64 v[8:9], v53, s[2:3] offset:40
	global_load_b128 v[4:7], v53, s[2:3]
	v_readfirstlane_b32 s4, v2
	v_readfirstlane_b32 s5, v3
	s_mov_b32 s1, exec_lo
	s_waitcnt vmcnt(1)
	v_readfirstlane_b32 s6, v8
	v_readfirstlane_b32 s7, v9
	s_delay_alu instid0(VALU_DEP_1) | instskip(NEXT) | instid1(SALU_CYCLE_1)
	s_and_b64 s[6:7], s[4:5], s[6:7]
	s_mul_i32 s8, s7, 24
	s_mul_hi_u32 s9, s6, 24
	s_mul_i32 s10, s6, 24
	s_add_i32 s9, s9, s8
	s_waitcnt vmcnt(0)
	v_add_co_u32 v8, vcc_lo, v4, s10
	v_add_co_ci_u32_e32 v9, vcc_lo, s9, v5, vcc_lo
	s_and_saveexec_b32 s8, s0
	s_cbranch_execz .LBB1_506
; %bb.505:                              ;   in Loop: Header=BB1_214 Depth=2
	v_mov_b32_e32 v52, s1
	global_store_b128 v[8:9], v[52:55], off offset:8
.LBB1_506:                              ;   in Loop: Header=BB1_214 Depth=2
	s_or_b32 exec_lo, exec_lo, s8
	s_lshl_b64 s[6:7], s[6:7], 12
	s_mov_b32 s37, s36
	v_add_co_u32 v6, vcc_lo, v6, s6
	v_add_co_ci_u32_e32 v7, vcc_lo, s7, v7, vcc_lo
	s_mov_b32 s38, s36
	s_mov_b32 s39, s36
	v_and_or_b32 v0, 0xffffff1d, v0, 34
	v_mov_b32_e32 v2, v53
	v_dual_mov_b32 v3, v53 :: v_dual_mov_b32 v10, s36
	v_readfirstlane_b32 s6, v6
	v_readfirstlane_b32 s7, v7
	v_dual_mov_b32 v11, s37 :: v_dual_mov_b32 v12, s38
	v_mov_b32_e32 v13, s39
	s_clause 0x3
	global_store_b128 v29, v[0:3], s[6:7]
	global_store_b128 v29, v[10:13], s[6:7] offset:16
	global_store_b128 v29, v[10:13], s[6:7] offset:32
	;; [unrolled: 1-line block ×3, first 2 shown]
	s_and_saveexec_b32 s1, s0
	s_cbranch_execz .LBB1_514
; %bb.507:                              ;   in Loop: Header=BB1_214 Depth=2
	s_clause 0x1
	global_load_b64 v[12:13], v53, s[2:3] offset:32 glc
	global_load_b64 v[0:1], v53, s[2:3] offset:40
	v_dual_mov_b32 v10, s4 :: v_dual_mov_b32 v11, s5
	s_waitcnt vmcnt(0)
	v_readfirstlane_b32 s6, v0
	v_readfirstlane_b32 s7, v1
	s_delay_alu instid0(VALU_DEP_1) | instskip(NEXT) | instid1(SALU_CYCLE_1)
	s_and_b64 s[6:7], s[6:7], s[4:5]
	s_mul_i32 s7, s7, 24
	s_mul_hi_u32 s8, s6, 24
	s_mul_i32 s6, s6, 24
	s_add_i32 s8, s8, s7
	v_add_co_u32 v4, vcc_lo, v4, s6
	v_add_co_ci_u32_e32 v5, vcc_lo, s8, v5, vcc_lo
	s_mov_b32 s6, exec_lo
	global_store_b64 v[4:5], v[12:13], off
	s_waitcnt_vscnt null, 0x0
	global_atomic_cmpswap_b64 v[2:3], v53, v[10:13], s[2:3] offset:32 glc
	s_waitcnt vmcnt(0)
	v_cmpx_ne_u64_e64 v[2:3], v[12:13]
	s_cbranch_execz .LBB1_510
; %bb.508:                              ;   in Loop: Header=BB1_214 Depth=2
	s_mov_b32 s7, 0
.LBB1_509:                              ;   Parent Loop BB1_13 Depth=1
                                        ;     Parent Loop BB1_214 Depth=2
                                        ; =>    This Inner Loop Header: Depth=3
	v_dual_mov_b32 v0, s4 :: v_dual_mov_b32 v1, s5
	s_sleep 1
	global_store_b64 v[4:5], v[2:3], off
	s_waitcnt_vscnt null, 0x0
	global_atomic_cmpswap_b64 v[0:1], v53, v[0:3], s[2:3] offset:32 glc
	s_waitcnt vmcnt(0)
	v_cmp_eq_u64_e32 vcc_lo, v[0:1], v[2:3]
	v_dual_mov_b32 v3, v1 :: v_dual_mov_b32 v2, v0
	s_or_b32 s7, vcc_lo, s7
	s_delay_alu instid0(SALU_CYCLE_1)
	s_and_not1_b32 exec_lo, exec_lo, s7
	s_cbranch_execnz .LBB1_509
.LBB1_510:                              ;   in Loop: Header=BB1_214 Depth=2
	s_or_b32 exec_lo, exec_lo, s6
	global_load_b64 v[0:1], v53, s[2:3] offset:16
	s_mov_b32 s7, exec_lo
	s_mov_b32 s6, exec_lo
	v_mbcnt_lo_u32_b32 v2, s7, 0
	s_delay_alu instid0(VALU_DEP_1)
	v_cmpx_eq_u32_e32 0, v2
	s_cbranch_execz .LBB1_512
; %bb.511:                              ;   in Loop: Header=BB1_214 Depth=2
	s_bcnt1_i32_b32 s7, s7
	s_delay_alu instid0(SALU_CYCLE_1)
	v_mov_b32_e32 v52, s7
	s_waitcnt vmcnt(0)
	global_atomic_add_u64 v[0:1], v[52:53], off offset:8
.LBB1_512:                              ;   in Loop: Header=BB1_214 Depth=2
	s_or_b32 exec_lo, exec_lo, s6
	s_waitcnt vmcnt(0)
	global_load_b64 v[2:3], v[0:1], off offset:16
	s_waitcnt vmcnt(0)
	v_cmp_eq_u64_e32 vcc_lo, 0, v[2:3]
	s_cbranch_vccnz .LBB1_514
; %bb.513:                              ;   in Loop: Header=BB1_214 Depth=2
	global_load_b32 v52, v[0:1], off offset:24
	s_waitcnt vmcnt(0)
	v_and_b32_e32 v0, 0xffffff, v52
	s_waitcnt_vscnt null, 0x0
	global_store_b64 v[2:3], v[52:53], off
	v_readfirstlane_b32 m0, v0
	s_sendmsg sendmsg(MSG_INTERRUPT)
.LBB1_514:                              ;   in Loop: Header=BB1_214 Depth=2
	s_or_b32 exec_lo, exec_lo, s1
	s_branch .LBB1_518
	.p2align	6
.LBB1_515:                              ;   in Loop: Header=BB1_518 Depth=3
	s_or_b32 exec_lo, exec_lo, s1
	s_delay_alu instid0(VALU_DEP_1) | instskip(NEXT) | instid1(VALU_DEP_1)
	v_readfirstlane_b32 s1, v0
	s_cmp_eq_u32 s1, 0
	s_cbranch_scc1 .LBB1_517
; %bb.516:                              ;   in Loop: Header=BB1_518 Depth=3
	s_sleep 1
	s_cbranch_execnz .LBB1_518
	s_branch .LBB1_520
	.p2align	6
.LBB1_517:                              ;   in Loop: Header=BB1_214 Depth=2
	s_branch .LBB1_520
.LBB1_518:                              ;   Parent Loop BB1_13 Depth=1
                                        ;     Parent Loop BB1_214 Depth=2
                                        ; =>    This Inner Loop Header: Depth=3
	v_mov_b32_e32 v0, 1
	s_and_saveexec_b32 s1, s0
	s_cbranch_execz .LBB1_515
; %bb.519:                              ;   in Loop: Header=BB1_518 Depth=3
	global_load_b32 v0, v[8:9], off offset:20 glc
	s_waitcnt vmcnt(0)
	buffer_gl1_inv
	buffer_gl0_inv
	v_and_b32_e32 v0, 1, v0
	s_branch .LBB1_515
.LBB1_520:                              ;   in Loop: Header=BB1_214 Depth=2
	s_and_b32 exec_lo, exec_lo, s0
	s_cbranch_execz .LBB1_524
; %bb.521:                              ;   in Loop: Header=BB1_214 Depth=2
	s_clause 0x2
	global_load_b64 v[2:3], v53, s[2:3] offset:40
	global_load_b64 v[6:7], v53, s[2:3] offset:24 glc
	global_load_b64 v[4:5], v53, s[2:3]
	s_waitcnt vmcnt(2)
	v_add_co_u32 v8, vcc_lo, v2, 1
	v_add_co_ci_u32_e32 v9, vcc_lo, 0, v3, vcc_lo
	s_delay_alu instid0(VALU_DEP_2) | instskip(NEXT) | instid1(VALU_DEP_2)
	v_add_co_u32 v0, vcc_lo, v8, s4
	v_add_co_ci_u32_e32 v1, vcc_lo, s5, v9, vcc_lo
	s_delay_alu instid0(VALU_DEP_1) | instskip(SKIP_1) | instid1(VALU_DEP_1)
	v_cmp_eq_u64_e32 vcc_lo, 0, v[0:1]
	v_dual_cndmask_b32 v1, v1, v9 :: v_dual_cndmask_b32 v0, v0, v8
	v_and_b32_e32 v3, v1, v3
	s_delay_alu instid0(VALU_DEP_2) | instskip(NEXT) | instid1(VALU_DEP_1)
	v_and_b32_e32 v2, v0, v2
	v_mul_hi_u32 v8, v2, 24
	v_mul_lo_u32 v2, v2, 24
	s_waitcnt vmcnt(0)
	s_delay_alu instid0(VALU_DEP_1) | instskip(SKIP_2) | instid1(VALU_DEP_1)
	v_add_co_u32 v4, vcc_lo, v4, v2
	v_mov_b32_e32 v2, v6
	v_mul_lo_u32 v3, v3, 24
	v_add_nc_u32_e32 v3, v8, v3
	s_delay_alu instid0(VALU_DEP_1)
	v_add_co_ci_u32_e32 v5, vcc_lo, v5, v3, vcc_lo
	v_mov_b32_e32 v3, v7
	global_store_b64 v[4:5], v[6:7], off
	s_waitcnt_vscnt null, 0x0
	global_atomic_cmpswap_b64 v[2:3], v53, v[0:3], s[2:3] offset:24 glc
	s_waitcnt vmcnt(0)
	v_cmp_ne_u64_e32 vcc_lo, v[2:3], v[6:7]
	s_and_b32 exec_lo, exec_lo, vcc_lo
	s_cbranch_execz .LBB1_524
; %bb.522:                              ;   in Loop: Header=BB1_214 Depth=2
	s_mov_b32 s0, 0
.LBB1_523:                              ;   Parent Loop BB1_13 Depth=1
                                        ;     Parent Loop BB1_214 Depth=2
                                        ; =>    This Inner Loop Header: Depth=3
	s_sleep 1
	global_store_b64 v[4:5], v[2:3], off
	s_waitcnt_vscnt null, 0x0
	global_atomic_cmpswap_b64 v[6:7], v53, v[0:3], s[2:3] offset:24 glc
	s_waitcnt vmcnt(0)
	v_cmp_eq_u64_e32 vcc_lo, v[6:7], v[2:3]
	v_dual_mov_b32 v2, v6 :: v_dual_mov_b32 v3, v7
	s_or_b32 s0, vcc_lo, s0
	s_delay_alu instid0(SALU_CYCLE_1)
	s_and_not1_b32 exec_lo, exec_lo, s0
	s_cbranch_execnz .LBB1_523
.LBB1_524:                              ;   in Loop: Header=BB1_214 Depth=2
	s_or_b32 exec_lo, exec_lo, s17
	scratch_load_u8 v0, off, off offset:16
	s_waitcnt vmcnt(1)
	v_mov_b32_e32 v2, 0x58
	s_mov_b32 s3, exec_lo
	s_clause 0x1
	global_store_b8 v[22:23], v2, off offset:48
	global_store_b32 v[22:23], v53, off offset:52
	v_cmpx_lt_i32_e32 0, v28
	s_cbranch_execz .LBB1_530
; %bb.525:                              ;   in Loop: Header=BB1_214 Depth=2
	s_mov_b32 s0, 0
                                        ; implicit-def: $vgpr2
                                        ; implicit-def: $vgpr1
	s_mov_b32 s1, exec_lo
	v_cmpx_lt_u32_e32 3, v28
	s_xor_b32 s4, exec_lo, s1
	s_cbranch_execnz .LBB1_538
; %bb.526:                              ;   in Loop: Header=BB1_214 Depth=2
	s_and_not1_saveexec_b32 s1, s4
	s_cbranch_execnz .LBB1_557
.LBB1_527:                              ;   in Loop: Header=BB1_214 Depth=2
	s_or_b32 exec_lo, exec_lo, s1
	s_and_saveexec_b32 s1, s0
	s_cbranch_execz .LBB1_529
.LBB1_528:                              ;   in Loop: Header=BB1_214 Depth=2
	s_waitcnt vmcnt(0)
	v_mov_b32_e32 v2, v1
	global_store_b8 v[22:23], v1, off offset:48
.LBB1_529:                              ;   in Loop: Header=BB1_214 Depth=2
	s_or_b32 exec_lo, exec_lo, s1
.LBB1_530:                              ;   in Loop: Header=BB1_214 Depth=2
	s_delay_alu instid0(SALU_CYCLE_1) | instskip(SKIP_3) | instid1(VALU_DEP_1)
	s_or_b32 exec_lo, exec_lo, s3
	s_waitcnt vmcnt(0)
	v_and_b32_e32 v1, 0xff, v2
	v_and_b32_e32 v0, 0xff, v0
	v_cmp_eq_u16_e64 s0, v0, v1
	v_cmp_ne_u16_e32 vcc_lo, v0, v1
	v_mov_b32_e32 v0, 16
	s_and_saveexec_b32 s1, vcc_lo
	s_cbranch_execz .LBB1_536
; %bb.531:                              ;   in Loop: Header=BB1_214 Depth=2
	scratch_load_u8 v0, off, off offset:32
	s_waitcnt vmcnt(0)
	v_cmp_eq_u16_e64 s2, v0, v1
	v_cmp_ne_u16_e32 vcc_lo, v0, v1
	v_mov_b32_e32 v0, v84
	s_and_saveexec_b32 s3, vcc_lo
	s_cbranch_execz .LBB1_535
; %bb.532:                              ;   in Loop: Header=BB1_214 Depth=2
	scratch_load_u8 v0, off, off offset:48
	s_waitcnt vmcnt(0)
	v_cmp_eq_u16_e64 s4, v0, v1
	v_cmp_ne_u16_e32 vcc_lo, v0, v1
	v_mov_b32_e32 v0, v85
	s_and_saveexec_b32 s5, vcc_lo
	s_cbranch_execz .LBB1_534
; %bb.533:                              ;   in Loop: Header=BB1_214 Depth=2
	scratch_load_u8 v0, off, off offset:64
	s_and_not1_b32 s4, s4, exec_lo
	s_waitcnt vmcnt(0)
	v_cmp_eq_u16_e32 vcc_lo, v0, v1
	v_mov_b32_e32 v0, v86
	s_and_b32 s6, vcc_lo, exec_lo
	s_delay_alu instid0(SALU_CYCLE_1)
	s_or_b32 s4, s4, s6
.LBB1_534:                              ;   in Loop: Header=BB1_214 Depth=2
	s_or_b32 exec_lo, exec_lo, s5
	s_delay_alu instid0(SALU_CYCLE_1) | instskip(SKIP_1) | instid1(SALU_CYCLE_1)
	s_and_not1_b32 s2, s2, exec_lo
	s_and_b32 s4, s4, exec_lo
	s_or_b32 s2, s2, s4
.LBB1_535:                              ;   in Loop: Header=BB1_214 Depth=2
	s_or_b32 exec_lo, exec_lo, s3
	s_delay_alu instid0(SALU_CYCLE_1) | instskip(SKIP_1) | instid1(SALU_CYCLE_1)
	s_and_not1_b32 s0, s0, exec_lo
	s_and_b32 s2, s2, exec_lo
	s_or_b32 s0, s0, s2
.LBB1_536:                              ;   in Loop: Header=BB1_214 Depth=2
	s_or_b32 exec_lo, exec_lo, s1
	s_delay_alu instid0(SALU_CYCLE_1)
	s_and_b32 exec_lo, exec_lo, s0
	s_cbranch_execz .LBB1_213
; %bb.537:                              ;   in Loop: Header=BB1_214 Depth=2
	scratch_load_b32 v0, v0, off offset:8
	s_waitcnt vmcnt(0)
	global_store_b32 v[22:23], v0, off offset:52
	s_branch .LBB1_213
.LBB1_538:                              ;   in Loop: Header=BB1_214 Depth=2
                                        ; implicit-def: $vgpr2
                                        ; implicit-def: $vgpr1
	s_mov_b32 s1, exec_lo
	v_cmpx_lt_u32_e32 5, v28
	s_xor_b32 s5, exec_lo, s1
	s_cbranch_execz .LBB1_554
; %bb.539:                              ;   in Loop: Header=BB1_214 Depth=2
                                        ; implicit-def: $sgpr8
                                        ; implicit-def: $vgpr1
	s_mov_b32 s1, exec_lo
	v_cmpx_ne_u32_e32 6, v28
	s_xor_b32 s6, exec_lo, s1
	s_cbranch_execz .LBB1_551
; %bb.540:                              ;   in Loop: Header=BB1_214 Depth=2
	v_cmp_gt_i32_e32 vcc_lo, 7, v27
	s_waitcnt vmcnt(0)
	v_mov_b32_e32 v1, v0
	s_mov_b32 s7, exec_lo
                                        ; implicit-def: $sgpr8
	v_cmpx_lt_i32_e32 6, v27
	s_cbranch_execz .LBB1_550
; %bb.541:                              ;   in Loop: Header=BB1_214 Depth=2
	scratch_load_b32 v1, off, off offset:60
                                        ; implicit-def: $sgpr8
	s_waitcnt vmcnt(0)
	v_cmp_eq_u32_e64 s0, 7, v1
	v_cmp_ne_u32_e64 s1, 7, v1
	v_mov_b32_e32 v1, 0x46
	s_delay_alu instid0(VALU_DEP_2)
	s_and_saveexec_b32 s9, s1
	s_cbranch_execz .LBB1_549
; %bb.542:                              ;   in Loop: Header=BB1_214 Depth=2
	s_clause 0x1
	scratch_load_b32 v2, off, off offset:24
	scratch_load_b32 v3, off, off offset:40
	v_mov_b32_e32 v1, 0x46
	s_mov_b32 s10, exec_lo
                                        ; implicit-def: $sgpr8
	s_waitcnt vmcnt(0)
	v_cmp_eq_u32_e64 s1, v2, v3
	v_cmpx_ne_u32_e64 v2, v3
	s_cbranch_execz .LBB1_548
; %bb.543:                              ;   in Loop: Header=BB1_214 Depth=2
	v_mov_b32_e32 v1, v0
	s_mov_b32 s12, -1
	s_mov_b32 s11, exec_lo
                                        ; implicit-def: $sgpr8
	v_cmpx_le_u32_e64 v2, v3
	s_cbranch_execz .LBB1_547
; %bb.544:                              ;   in Loop: Header=BB1_214 Depth=2
	v_cmp_gt_u32_e64 s2, v3, v2
	v_mov_b32_e32 v1, v0
	s_mov_b32 s12, 0
	s_delay_alu instid0(VALU_DEP_2) | instskip(NEXT) | instid1(SALU_CYCLE_1)
	s_and_saveexec_b32 s8, s2
	s_xor_b32 s2, exec_lo, s8
	s_cbranch_execz .LBB1_546
; %bb.545:                              ;   in Loop: Header=BB1_214 Depth=2
	scratch_load_u8 v1, off, off offset:32
	s_mov_b32 s12, exec_lo
.LBB1_546:                              ;   in Loop: Header=BB1_214 Depth=2
	s_or_b32 exec_lo, exec_lo, s2
	s_movk_i32 s8, 0x58
	s_or_not1_b32 s12, s12, exec_lo
.LBB1_547:                              ;   in Loop: Header=BB1_214 Depth=2
	s_or_b32 exec_lo, exec_lo, s11
	s_delay_alu instid0(SALU_CYCLE_1) | instskip(SKIP_1) | instid1(SALU_CYCLE_1)
	s_and_not1_b32 s1, s1, exec_lo
	s_and_b32 s2, s12, exec_lo
	s_or_b32 s1, s1, s2
.LBB1_548:                              ;   in Loop: Header=BB1_214 Depth=2
	s_or_b32 exec_lo, exec_lo, s10
	s_delay_alu instid0(SALU_CYCLE_1) | instskip(SKIP_1) | instid1(SALU_CYCLE_1)
	s_and_not1_b32 s0, s0, exec_lo
	s_and_b32 s1, s1, exec_lo
	s_or_b32 s0, s0, s1
.LBB1_549:                              ;   in Loop: Header=BB1_214 Depth=2
	s_or_b32 exec_lo, exec_lo, s9
	s_delay_alu instid0(SALU_CYCLE_1) | instskip(SKIP_1) | instid1(SALU_CYCLE_1)
	s_and_not1_b32 s1, vcc_lo, exec_lo
	s_and_b32 s0, s0, exec_lo
	s_or_b32 vcc_lo, s1, s0
.LBB1_550:                              ;   in Loop: Header=BB1_214 Depth=2
	s_or_b32 exec_lo, exec_lo, s7
	s_delay_alu instid0(SALU_CYCLE_1)
	s_and_b32 s0, vcc_lo, exec_lo
                                        ; implicit-def: $vgpr27
.LBB1_551:                              ;   in Loop: Header=BB1_214 Depth=2
	s_or_saveexec_b32 s1, s6
	v_mov_b32_e32 v2, s8
	s_xor_b32 exec_lo, exec_lo, s1
	s_cbranch_execz .LBB1_553
; %bb.552:                              ;   in Loop: Header=BB1_214 Depth=2
	v_cmp_gt_i32_e32 vcc_lo, 4, v27
	s_waitcnt vmcnt(0)
	v_dual_mov_b32 v2, 0x58 :: v_dual_mov_b32 v1, v0
	s_and_not1_b32 s0, s0, exec_lo
	s_and_b32 s2, vcc_lo, exec_lo
	s_delay_alu instid0(SALU_CYCLE_1)
	s_or_b32 s0, s0, s2
.LBB1_553:                              ;   in Loop: Header=BB1_214 Depth=2
	s_or_b32 exec_lo, exec_lo, s1
	s_delay_alu instid0(SALU_CYCLE_1)
	s_and_b32 s0, s0, exec_lo
                                        ; implicit-def: $vgpr27
.LBB1_554:                              ;   in Loop: Header=BB1_214 Depth=2
	s_and_not1_saveexec_b32 s1, s5
	s_cbranch_execz .LBB1_556
; %bb.555:                              ;   in Loop: Header=BB1_214 Depth=2
	v_cmp_gt_i32_e32 vcc_lo, 3, v27
	s_waitcnt vmcnt(0)
	v_dual_mov_b32 v2, 0x58 :: v_dual_mov_b32 v1, v0
	s_and_not1_b32 s0, s0, exec_lo
	s_and_b32 s2, vcc_lo, exec_lo
	s_delay_alu instid0(SALU_CYCLE_1)
	s_or_b32 s0, s0, s2
.LBB1_556:                              ;   in Loop: Header=BB1_214 Depth=2
	s_or_b32 exec_lo, exec_lo, s1
	s_delay_alu instid0(SALU_CYCLE_1)
	s_and_b32 s0, s0, exec_lo
                                        ; implicit-def: $vgpr27
	s_and_not1_saveexec_b32 s1, s4
	s_cbranch_execz .LBB1_527
.LBB1_557:                              ;   in Loop: Header=BB1_214 Depth=2
	v_cmp_eq_u32_e32 vcc_lo, 0, v27
	s_waitcnt vmcnt(0)
	v_dual_mov_b32 v2, 0x58 :: v_dual_mov_b32 v1, v0
	s_and_not1_b32 s0, s0, exec_lo
	s_and_b32 s2, vcc_lo, exec_lo
	s_delay_alu instid0(SALU_CYCLE_1)
	s_or_b32 s0, s0, s2
	s_or_b32 exec_lo, exec_lo, s1
	s_and_saveexec_b32 s1, s0
	s_cbranch_execnz .LBB1_528
	s_branch .LBB1_529
.LBB1_558:                              ;   in Loop: Header=BB1_13 Depth=1
	s_or_b32 exec_lo, exec_lo, s14
	s_and_saveexec_b32 s0, s34
	s_cbranch_execz .LBB1_561
; %bb.559:                              ;   in Loop: Header=BB1_13 Depth=1
	v_mov_b32_e32 v0, v70
	v_dual_mov_b32 v52, v89 :: v_dual_mov_b32 v1, v71
	s_mov_b32 s1, 0
.LBB1_560:                              ;   Parent Loop BB1_13 Depth=1
                                        ; =>  This Inner Loop Header: Depth=2
	s_delay_alu instid0(VALU_DEP_2) | instskip(NEXT) | instid1(VALU_DEP_2)
	v_mad_u64_u32 v[2:3], null, v0, 24, v[62:63]
	v_cmp_le_u64_e32 vcc_lo, s[54:55], v[52:53]
	s_or_b32 s1, vcc_lo, s1
	s_delay_alu instid0(VALU_DEP_2) | instskip(NEXT) | instid1(VALU_DEP_1)
	v_mov_b32_e32 v0, v3
	v_mad_u64_u32 v[3:4], null, v1, 24, v[0:1]
	v_dual_mov_b32 v0, v52 :: v_dual_mov_b32 v1, v53
	v_add_nc_u32_e32 v52, 32, v52
	global_store_b32 v[2:3], v90, off offset:8
	s_and_not1_b32 exec_lo, exec_lo, s1
	s_cbranch_execnz .LBB1_560
.LBB1_561:                              ;   in Loop: Header=BB1_13 Depth=1
	s_or_b32 exec_lo, exec_lo, s0
	s_mov_b32 s4, -1
	s_mov_b32 s0, -1
	s_and_saveexec_b32 s5, s35
	s_cbranch_execz .LBB1_704
; %bb.562:                              ;   in Loop: Header=BB1_13 Depth=1
	v_sub_nc_u32_e32 v0, v81, v42
	v_max_i32_e32 v2, 1, v42
	s_mov_b64 s[2:3], 0
	s_mov_b32 s1, 0
	s_delay_alu instid0(VALU_DEP_2) | instskip(SKIP_1) | instid1(VALU_DEP_2)
	v_ashrrev_i32_e32 v1, 31, v0
	v_add_co_u32 v0, vcc_lo, v66, v0
	v_add_co_ci_u32_e32 v1, vcc_lo, v67, v1, vcc_lo
	.p2align	6
.LBB1_563:                              ;   Parent Loop BB1_13 Depth=1
                                        ; =>  This Inner Loop Header: Depth=2
	s_delay_alu instid0(VALU_DEP_2) | instskip(NEXT) | instid1(VALU_DEP_2)
	v_add_co_u32 v3, vcc_lo, v0, s2
	v_add_co_ci_u32_e32 v4, vcc_lo, s3, v1, vcc_lo
	global_load_u8 v5, v[3:4], off
	v_add_co_u32 v3, vcc_lo, v64, s2
	s_add_u32 s2, s2, 1
	v_add_co_ci_u32_e32 v4, vcc_lo, s3, v65, vcc_lo
	v_cmp_eq_u32_e64 s0, s2, v2
	s_addc_u32 s3, s3, 0
	s_delay_alu instid0(VALU_DEP_1)
	s_or_b32 s1, s0, s1
	s_waitcnt vmcnt(0)
	global_store_b8 v[3:4], v5, off
	s_and_not1_b32 exec_lo, exec_lo, s1
	s_cbranch_execnz .LBB1_563
; %bb.564:                              ;   in Loop: Header=BB1_13 Depth=1
	s_or_b32 exec_lo, exec_lo, s1
	s_delay_alu instid0(SALU_CYCLE_1)
	s_and_not1_b32 vcc_lo, exec_lo, s48
	s_cbranch_vccnz .LBB1_690
; %bb.565:                              ;   in Loop: Header=BB1_13 Depth=1
	v_mov_b32_e32 v40, v64
	v_xor_b32_e32 v5, 0x3fb0bb5f, v42
	v_dual_mov_b32 v7, 0x58 :: v_dual_add_nc_u32 v6, 4, v42
	v_dual_mov_b32 v4, 0 :: v_dual_mov_b32 v41, v65
	s_mov_b32 s6, 0
	s_mov_b32 s7, 0
	s_branch .LBB1_569
.LBB1_566:                              ;   in Loop: Header=BB1_569 Depth=2
	s_or_b32 exec_lo, exec_lo, s8
	s_delay_alu instid0(SALU_CYCLE_1)
	s_or_not1_b32 s1, s1, exec_lo
.LBB1_567:                              ;   in Loop: Header=BB1_569 Depth=2
	s_or_b32 exec_lo, exec_lo, s0
	s_delay_alu instid0(SALU_CYCLE_1)
	s_or_not1_b32 s1, s1, exec_lo
.LBB1_568:                              ;   in Loop: Header=BB1_569 Depth=2
	s_or_b32 exec_lo, exec_lo, s2
	s_add_i32 s7, s7, 1
	v_mov_b32_e32 v7, v2
	s_cmp_eq_u32 s7, s54
	s_cselect_b32 s0, -1, 0
	s_delay_alu instid0(SALU_CYCLE_1) | instskip(NEXT) | instid1(SALU_CYCLE_1)
	s_or_b32 s0, s1, s0
	s_and_b32 s0, exec_lo, s0
	s_delay_alu instid0(SALU_CYCLE_1) | instskip(NEXT) | instid1(SALU_CYCLE_1)
	s_or_b32 s6, s0, s6
	s_and_not1_b32 exec_lo, exec_lo, s6
	s_cbranch_execz .LBB1_689
.LBB1_569:                              ;   Parent Loop BB1_13 Depth=1
                                        ; =>  This Loop Header: Depth=2
                                        ;       Child Loop BB1_575 Depth 3
                                        ;       Child Loop BB1_594 Depth 3
	;; [unrolled: 1-line block ×3, first 2 shown]
                                        ;         Child Loop BB1_605 Depth 4
                                        ;       Child Loop BB1_619 Depth 3
                                        ;       Child Loop BB1_638 Depth 3
	;; [unrolled: 1-line block ×3, first 2 shown]
                                        ;         Child Loop BB1_649 Depth 4
	v_and_b32_e32 v8, 3, v40
                                        ; implicit-def: $vgpr12
	s_delay_alu instid0(VALU_DEP_1) | instskip(SKIP_1) | instid1(SALU_CYCLE_1)
	v_cmp_ne_u32_e32 vcc_lo, 0, v8
	s_and_saveexec_b32 s0, vcc_lo
	s_xor_b32 s2, exec_lo, s0
	s_cbranch_execz .LBB1_592
; %bb.570:                              ;   in Loop: Header=BB1_569 Depth=2
	v_mov_b32_e32 v0, 0
	s_mov_b32 s1, exec_lo
	v_cmpx_gt_i32_e32 3, v8
	s_cbranch_execz .LBB1_574
; %bb.571:                              ;   in Loop: Header=BB1_569 Depth=2
	v_mov_b32_e32 v0, 0
	s_mov_b32 s3, exec_lo
	v_cmpx_ne_u32_e32 2, v8
	s_cbranch_execz .LBB1_573
; %bb.572:                              ;   in Loop: Header=BB1_569 Depth=2
	global_load_u8 v0, v[40:41], off offset:2
	s_waitcnt vmcnt(0)
	v_lshlrev_b32_e32 v0, 16, v0
.LBB1_573:                              ;   in Loop: Header=BB1_569 Depth=2
	s_or_b32 exec_lo, exec_lo, s3
	global_load_u8 v1, v[40:41], off offset:1
	s_waitcnt vmcnt(0)
	v_lshl_or_b32 v0, v1, 8, v0
.LBB1_574:                              ;   in Loop: Header=BB1_569 Depth=2
	s_or_b32 exec_lo, exec_lo, s1
	global_load_u8 v1, v[40:41], off
	v_sub_nc_u32_e32 v2, 4, v8
	v_dual_mov_b32 v10, v5 :: v_dual_lshlrev_b32 v13, 3, v8
	v_add_nc_u32_e32 v11, v42, v8
	s_mov_b32 s3, 0
	s_delay_alu instid0(VALU_DEP_3) | instskip(SKIP_3) | instid1(VALU_DEP_1)
	v_lshlrev_b32_e32 v14, 3, v2
	s_waitcnt vmcnt(0)
	v_or_b32_e32 v3, v0, v1
	v_add_co_u32 v0, s0, v40, v2
	v_add_co_ci_u32_e64 v1, s0, 0, v41, s0
	s_delay_alu instid0(VALU_DEP_3)
	v_lshlrev_b32_e32 v2, v13, v3
	.p2align	6
.LBB1_575:                              ;   Parent Loop BB1_13 Depth=1
                                        ;     Parent Loop BB1_569 Depth=2
                                        ; =>    This Inner Loop Header: Depth=3
	global_load_b32 v9, v[0:1], off
	v_lshrrev_b32_e32 v2, v13, v2
	v_add_nc_u32_e32 v11, -4, v11
	v_add_co_u32 v0, s0, v0, 4
	s_delay_alu instid0(VALU_DEP_1) | instskip(SKIP_2) | instid1(VALU_DEP_1)
	v_add_co_ci_u32_e64 v1, s0, 0, v1, s0
	s_waitcnt vmcnt(0)
	v_lshl_or_b32 v2, v9, v14, v2
	v_mul_lo_u32 v2, 0x5bd1e995, v2
	s_delay_alu instid0(VALU_DEP_1) | instskip(NEXT) | instid1(VALU_DEP_1)
	v_lshrrev_b32_e32 v3, 24, v2
	v_xor_b32_e32 v2, v3, v2
	v_mul_lo_u32 v3, 0x5bd1e995, v10
	s_delay_alu instid0(VALU_DEP_2) | instskip(SKIP_2) | instid1(VALU_DEP_1)
	v_mul_lo_u32 v10, 0x5bd1e995, v2
	v_mov_b32_e32 v2, v9
	v_cmp_gt_u32_e64 s1, 8, v11
	s_or_b32 s3, s1, s3
	s_delay_alu instid0(VALU_DEP_3)
	v_xor_b32_e32 v10, v10, v3
	s_and_not1_b32 exec_lo, exec_lo, s3
	s_cbranch_execnz .LBB1_575
; %bb.576:                              ;   in Loop: Header=BB1_569 Depth=2
	s_or_b32 exec_lo, exec_lo, s3
	v_add_co_u32 v2, s0, v0, -4
	v_add_nc_u32_e32 v15, -4, v11
	v_add_co_ci_u32_e64 v3, s0, -1, v1, s0
	s_mov_b32 s1, exec_lo
                                        ; implicit-def: $vgpr12
	s_delay_alu instid0(VALU_DEP_2)
	v_cmpx_ge_i32_e64 v15, v8
	s_xor_b32 s1, exec_lo, s1
	s_cbranch_execz .LBB1_586
; %bb.577:                              ;   in Loop: Header=BB1_569 Depth=2
	v_cmp_lt_i32_e64 s0, 2, v8
	s_mov_b32 s3, 0
                                        ; implicit-def: $vgpr12
	s_delay_alu instid0(VALU_DEP_1) | instskip(NEXT) | instid1(SALU_CYCLE_1)
	s_and_saveexec_b32 s8, s0
	s_xor_b32 s0, exec_lo, s8
	s_cbranch_execnz .LBB1_665
; %bb.578:                              ;   in Loop: Header=BB1_569 Depth=2
	s_or_saveexec_b32 s8, s0
                                        ; implicit-def: $sgpr0
	s_delay_alu instid0(SALU_CYCLE_1)
	s_xor_b32 exec_lo, exec_lo, s8
	s_cbranch_execnz .LBB1_666
.LBB1_579:                              ;   in Loop: Header=BB1_569 Depth=2
	s_or_b32 exec_lo, exec_lo, s8
	v_mov_b32_e32 v16, s0
	s_and_saveexec_b32 s0, s3
	s_cbranch_execz .LBB1_581
.LBB1_580:                              ;   in Loop: Header=BB1_569 Depth=2
	global_load_u8 v16, v[2:3], off offset:5
	s_waitcnt vmcnt(0)
	v_lshl_or_b32 v16, v16, 8, v12
.LBB1_581:                              ;   in Loop: Header=BB1_569 Depth=2
	s_or_b32 exec_lo, exec_lo, s0
	global_load_u8 v12, v[0:1], off
	v_lshrrev_b32_e32 v13, v13, v9
	v_add_co_u32 v2, s0, v2, v8
	s_delay_alu instid0(VALU_DEP_1) | instskip(SKIP_4) | instid1(VALU_DEP_1)
	v_add_co_ci_u32_e64 v3, s0, 0, v3, s0
	s_mov_b32 s3, 0
	s_mov_b32 s8, exec_lo
	s_waitcnt vmcnt(0)
	v_or_b32_e32 v12, v16, v12
	v_lshl_or_b32 v12, v12, v14, v13
	v_mul_lo_u32 v14, 0x5bd1e995, v10
	s_delay_alu instid0(VALU_DEP_2) | instskip(NEXT) | instid1(VALU_DEP_1)
	v_mul_lo_u32 v12, 0x5bd1e995, v12
	v_lshrrev_b32_e32 v13, 24, v12
	s_delay_alu instid0(VALU_DEP_1) | instskip(SKIP_1) | instid1(VALU_DEP_2)
	v_xor_b32_e32 v12, v13, v12
	v_sub_nc_u32_e32 v13, v15, v8
	v_mul_lo_u32 v12, 0x5bd1e995, v12
	s_delay_alu instid0(VALU_DEP_1) | instskip(NEXT) | instid1(VALU_DEP_3)
	v_xor_b32_e32 v12, v12, v14
	v_cmpx_lt_i32_e32 1, v13
	s_xor_b32 s8, exec_lo, s8
	s_cbranch_execnz .LBB1_667
; %bb.582:                              ;   in Loop: Header=BB1_569 Depth=2
	s_and_not1_saveexec_b32 s8, s8
	s_cbranch_execnz .LBB1_670
.LBB1_583:                              ;   in Loop: Header=BB1_569 Depth=2
	s_or_b32 exec_lo, exec_lo, s8
	s_and_saveexec_b32 s0, s3
	s_cbranch_execz .LBB1_585
.LBB1_584:                              ;   in Loop: Header=BB1_569 Depth=2
	global_load_u8 v2, v[2:3], off offset:4
	s_waitcnt vmcnt(0)
	v_xor_b32_e32 v2, v12, v2
	s_delay_alu instid0(VALU_DEP_1)
	v_mul_lo_u32 v12, 0x5bd1e995, v2
.LBB1_585:                              ;   in Loop: Header=BB1_569 Depth=2
	s_or_b32 exec_lo, exec_lo, s0
                                        ; implicit-def: $vgpr13
                                        ; implicit-def: $vgpr14
                                        ; implicit-def: $vgpr2_vgpr3
.LBB1_586:                              ;   in Loop: Header=BB1_569 Depth=2
	s_and_not1_saveexec_b32 s1, s1
	s_cbranch_execz .LBB1_655
; %bb.587:                              ;   in Loop: Header=BB1_569 Depth=2
	v_cmp_lt_i32_e64 s0, 5, v11
	s_mov_b32 s3, 0
                                        ; implicit-def: $vgpr12
	s_delay_alu instid0(VALU_DEP_1) | instskip(NEXT) | instid1(SALU_CYCLE_1)
	s_and_saveexec_b32 s8, s0
	s_xor_b32 s0, exec_lo, s8
	s_cbranch_execnz .LBB1_671
; %bb.588:                              ;   in Loop: Header=BB1_569 Depth=2
	s_or_saveexec_b32 s8, s0
                                        ; implicit-def: $sgpr0
	s_delay_alu instid0(SALU_CYCLE_1)
	s_xor_b32 exec_lo, exec_lo, s8
	s_cbranch_execnz .LBB1_672
.LBB1_589:                              ;   in Loop: Header=BB1_569 Depth=2
	s_or_b32 exec_lo, exec_lo, s8
	v_mov_b32_e32 v2, s0
	s_and_saveexec_b32 s0, s3
	s_cbranch_execz .LBB1_591
.LBB1_590:                              ;   in Loop: Header=BB1_569 Depth=2
	global_load_u8 v0, v[0:1], off
	s_waitcnt vmcnt(0)
	v_or_b32_e32 v2, v12, v0
.LBB1_591:                              ;   in Loop: Header=BB1_569 Depth=2
	s_or_b32 exec_lo, exec_lo, s0
	v_lshrrev_b32_e32 v0, v13, v9
	s_delay_alu instid0(VALU_DEP_1) | instskip(NEXT) | instid1(VALU_DEP_1)
	v_lshl_or_b32 v0, v2, v14, v0
	v_xor_b32_e32 v0, v0, v10
	s_delay_alu instid0(VALU_DEP_1)
	v_mul_lo_u32 v12, 0x5bd1e995, v0
	s_or_b32 exec_lo, exec_lo, s1
.LBB1_592:                              ;   in Loop: Header=BB1_569 Depth=2
	s_and_not1_saveexec_b32 s2, s2
	s_cbranch_execz .LBB1_600
.LBB1_593:                              ;   in Loop: Header=BB1_569 Depth=2
	v_mov_b32_e32 v0, v40
	v_dual_mov_b32 v2, v6 :: v_dual_mov_b32 v1, v41
	v_mov_b32_e32 v12, v5
	s_mov_b32 s3, 0
	.p2align	6
.LBB1_594:                              ;   Parent Loop BB1_13 Depth=1
                                        ;     Parent Loop BB1_569 Depth=2
                                        ; =>    This Inner Loop Header: Depth=3
	global_load_b32 v3, v[0:1], off
	v_add_nc_u32_e32 v2, -4, v2
	v_add_co_u32 v0, s0, v0, 4
	s_delay_alu instid0(VALU_DEP_1) | instskip(NEXT) | instid1(VALU_DEP_3)
	v_add_co_ci_u32_e64 v1, s0, 0, v1, s0
	v_cmp_gt_u32_e64 s1, 8, v2
	s_delay_alu instid0(VALU_DEP_1) | instskip(SKIP_2) | instid1(VALU_DEP_1)
	s_or_b32 s3, s1, s3
	s_waitcnt vmcnt(0)
	v_mul_lo_u32 v3, 0x5bd1e995, v3
	v_lshrrev_b32_e32 v9, 24, v3
	s_delay_alu instid0(VALU_DEP_1) | instskip(SKIP_1) | instid1(VALU_DEP_2)
	v_xor_b32_e32 v3, v9, v3
	v_mul_lo_u32 v9, 0x5bd1e995, v12
	v_mul_lo_u32 v3, 0x5bd1e995, v3
	s_delay_alu instid0(VALU_DEP_1)
	v_xor_b32_e32 v12, v3, v9
	s_and_not1_b32 exec_lo, exec_lo, s3
	s_cbranch_execnz .LBB1_594
; %bb.595:                              ;   in Loop: Header=BB1_569 Depth=2
	s_or_b32 exec_lo, exec_lo, s3
	s_mov_b32 s1, 0
	s_mov_b32 s3, exec_lo
                                        ; implicit-def: $vgpr3
	v_cmpx_lt_i32_e32 5, v2
	s_xor_b32 s3, exec_lo, s3
	s_cbranch_execnz .LBB1_656
; %bb.596:                              ;   in Loop: Header=BB1_569 Depth=2
	s_and_not1_saveexec_b32 s3, s3
	s_cbranch_execnz .LBB1_659
.LBB1_597:                              ;   in Loop: Header=BB1_569 Depth=2
	s_or_b32 exec_lo, exec_lo, s3
	s_and_saveexec_b32 s0, s1
	s_cbranch_execz .LBB1_599
.LBB1_598:                              ;   in Loop: Header=BB1_569 Depth=2
	global_load_u8 v0, v[0:1], off
	s_waitcnt vmcnt(0)
	v_xor_b32_e32 v0, v3, v0
	s_delay_alu instid0(VALU_DEP_1)
	v_mul_lo_u32 v12, 0x5bd1e995, v0
.LBB1_599:                              ;   in Loop: Header=BB1_569 Depth=2
	s_or_b32 exec_lo, exec_lo, s0
.LBB1_600:                              ;   in Loop: Header=BB1_569 Depth=2
	s_delay_alu instid0(SALU_CYCLE_1) | instskip(NEXT) | instid1(VALU_DEP_1)
	s_or_b32 exec_lo, exec_lo, s2
	v_lshrrev_b32_e32 v0, 13, v12
	v_mov_b32_e32 v2, -1
	s_mov_b32 s1, exec_lo
	s_delay_alu instid0(VALU_DEP_2) | instskip(NEXT) | instid1(VALU_DEP_1)
	v_xor_b32_e32 v0, v0, v12
	v_mul_lo_u32 v0, 0x5bd1e995, v0
	s_delay_alu instid0(VALU_DEP_1) | instskip(NEXT) | instid1(VALU_DEP_1)
	v_lshrrev_b32_e32 v1, 15, v0
	v_xor_b32_e32 v0, v1, v0
	s_delay_alu instid0(VALU_DEP_1) | instskip(NEXT) | instid1(VALU_DEP_1)
	v_mul_hi_u32 v1, v0, v87
	v_mul_lo_u32 v1, v1, s54
	s_delay_alu instid0(VALU_DEP_1) | instskip(NEXT) | instid1(VALU_DEP_1)
	v_sub_nc_u32_e32 v0, v0, v1
	v_subrev_nc_u32_e32 v1, s54, v0
	v_cmp_le_u32_e64 s0, s54, v0
	s_delay_alu instid0(VALU_DEP_1) | instskip(NEXT) | instid1(VALU_DEP_1)
	v_cndmask_b32_e64 v0, v0, v1, s0
	v_subrev_nc_u32_e32 v1, s54, v0
	v_cmp_le_u32_e64 s0, s54, v0
	s_delay_alu instid0(VALU_DEP_1) | instskip(NEXT) | instid1(VALU_DEP_1)
	v_cndmask_b32_e64 v9, v0, v1, s0
	v_mad_u64_u32 v[0:1], null, v9, 24, v[62:63]
	global_load_b32 v10, v[0:1], off offset:8
	s_waitcnt vmcnt(0)
	v_cmpx_ne_u32_e32 -1, v10
	s_cbranch_execz .LBB1_612
; %bb.601:                              ;   in Loop: Header=BB1_569 Depth=2
	s_mov_b32 s8, 0
	s_branch .LBB1_603
.LBB1_602:                              ;   in Loop: Header=BB1_603 Depth=3
	s_or_b32 exec_lo, exec_lo, s3
	s_delay_alu instid0(SALU_CYCLE_1) | instskip(NEXT) | instid1(SALU_CYCLE_1)
	s_and_b32 s0, exec_lo, s2
	s_or_b32 s8, s0, s8
	s_delay_alu instid0(SALU_CYCLE_1)
	s_and_not1_b32 exec_lo, exec_lo, s8
	s_cbranch_execz .LBB1_611
.LBB1_603:                              ;   Parent Loop BB1_13 Depth=1
                                        ;     Parent Loop BB1_569 Depth=2
                                        ; =>    This Loop Header: Depth=3
                                        ;         Child Loop BB1_605 Depth 4
	global_load_b64 v[2:3], v[0:1], off
	s_mov_b64 s[2:3], 0
	s_mov_b32 s10, 0
                                        ; implicit-def: $sgpr9
                                        ; implicit-def: $sgpr12
                                        ; implicit-def: $sgpr11
	s_set_inst_prefetch_distance 0x1
	s_branch .LBB1_605
	.p2align	6
.LBB1_604:                              ;   in Loop: Header=BB1_605 Depth=4
	s_or_b32 exec_lo, exec_lo, s13
	s_xor_b32 s0, s11, -1
	s_and_b32 s13, exec_lo, s12
	s_delay_alu instid0(SALU_CYCLE_1) | instskip(SKIP_2) | instid1(SALU_CYCLE_1)
	s_or_b32 s10, s13, s10
	s_and_not1_b32 s9, s9, exec_lo
	s_and_b32 s0, s0, exec_lo
	s_or_b32 s9, s9, s0
	s_and_not1_b32 exec_lo, exec_lo, s10
	s_cbranch_execz .LBB1_607
.LBB1_605:                              ;   Parent Loop BB1_13 Depth=1
                                        ;     Parent Loop BB1_569 Depth=2
                                        ;       Parent Loop BB1_603 Depth=3
                                        ; =>      This Inner Loop Header: Depth=4
	s_waitcnt vmcnt(0)
	v_add_co_u32 v11, s0, v2, s2
	s_delay_alu instid0(VALU_DEP_1) | instskip(SKIP_1) | instid1(VALU_DEP_1)
	v_add_co_ci_u32_e64 v12, s0, s3, v3, s0
	v_add_co_u32 v13, s0, v40, s2
	v_add_co_ci_u32_e64 v14, s0, s3, v41, s0
	s_or_b32 s11, s11, exec_lo
	flat_load_u8 v11, v[11:12]
	global_load_u8 v12, v[13:14], off
	s_or_b32 s12, s12, exec_lo
	s_mov_b32 s13, exec_lo
	s_waitcnt vmcnt(0) lgkmcnt(0)
	v_cmpx_eq_u16_e64 v11, v12
	s_cbranch_execz .LBB1_604
; %bb.606:                              ;   in Loop: Header=BB1_605 Depth=4
	s_add_u32 s2, s2, 1
	s_addc_u32 s3, s3, 0
	v_cmp_eq_u32_e64 s0, s2, v42
	s_and_not1_b32 s12, s12, exec_lo
	s_and_not1_b32 s11, s11, exec_lo
	s_delay_alu instid0(VALU_DEP_1) | instskip(NEXT) | instid1(SALU_CYCLE_1)
	s_and_b32 s0, s0, exec_lo
	s_or_b32 s12, s12, s0
	s_branch .LBB1_604
.LBB1_607:                              ;   in Loop: Header=BB1_603 Depth=3
	s_set_inst_prefetch_distance 0x2
	s_or_b32 exec_lo, exec_lo, s10
	s_mov_b32 s2, -1
	s_mov_b32 s0, -1
	s_and_saveexec_b32 s3, s9
	s_delay_alu instid0(SALU_CYCLE_1)
	s_xor_b32 s3, exec_lo, s3
; %bb.608:                              ;   in Loop: Header=BB1_603 Depth=3
	v_cmp_ne_u32_e64 s0, v10, v42
	s_delay_alu instid0(VALU_DEP_1)
	s_or_not1_b32 s0, s0, exec_lo
; %bb.609:                              ;   in Loop: Header=BB1_603 Depth=3
	s_or_b32 exec_lo, exec_lo, s3
	v_mov_b32_e32 v2, v42
                                        ; implicit-def: $vgpr10
	s_and_saveexec_b32 s3, s0
	s_cbranch_execz .LBB1_602
; %bb.610:                              ;   in Loop: Header=BB1_603 Depth=3
	v_add_nc_u32_e32 v0, 1, v9
	v_mov_b32_e32 v2, -1
	s_delay_alu instid0(VALU_DEP_2) | instskip(NEXT) | instid1(VALU_DEP_1)
	v_cmp_ne_u32_e64 s0, s54, v0
	v_cndmask_b32_e64 v9, 0, v0, s0
	s_delay_alu instid0(VALU_DEP_1) | instskip(SKIP_3) | instid1(VALU_DEP_1)
	v_mad_u64_u32 v[0:1], null, v9, 24, v[62:63]
	global_load_b32 v10, v[0:1], off offset:8
	s_waitcnt vmcnt(0)
	v_cmp_eq_u32_e64 s0, -1, v10
	s_or_not1_b32 s2, s0, exec_lo
	s_branch .LBB1_602
.LBB1_611:                              ;   in Loop: Header=BB1_569 Depth=2
	s_or_b32 exec_lo, exec_lo, s8
.LBB1_612:                              ;   in Loop: Header=BB1_569 Depth=2
	s_delay_alu instid0(SALU_CYCLE_1) | instskip(SKIP_3) | instid1(VALU_DEP_2)
	s_or_b32 exec_lo, exec_lo, s1
	v_cmp_eq_u32_e64 s0, -1, v2
	v_mov_b32_e32 v2, 0x52
	s_mov_b32 s1, -1
	s_and_saveexec_b32 s2, s0
	s_cbranch_execz .LBB1_568
; %bb.613:                              ;   in Loop: Header=BB1_569 Depth=2
	s_clause 0x1
	global_store_b96 v[0:1], v[40:42], off
	global_store_b8 v[0:1], v55, off offset:16
                                        ; implicit-def: $vgpr12
	s_and_saveexec_b32 s0, vcc_lo
	s_delay_alu instid0(SALU_CYCLE_1)
	s_xor_b32 s1, exec_lo, s0
	s_cbranch_execz .LBB1_636
; %bb.614:                              ;   in Loop: Header=BB1_569 Depth=2
	v_mov_b32_e32 v0, 0
	s_mov_b32 s0, exec_lo
	v_cmpx_gt_i32_e32 3, v8
	s_cbranch_execz .LBB1_618
; %bb.615:                              ;   in Loop: Header=BB1_569 Depth=2
	v_mov_b32_e32 v0, 0
	s_mov_b32 s3, exec_lo
	v_cmpx_ne_u32_e32 2, v8
	s_cbranch_execz .LBB1_617
; %bb.616:                              ;   in Loop: Header=BB1_569 Depth=2
	global_load_u8 v0, v[40:41], off offset:2
	s_waitcnt vmcnt(0)
	v_lshlrev_b32_e32 v0, 16, v0
.LBB1_617:                              ;   in Loop: Header=BB1_569 Depth=2
	s_or_b32 exec_lo, exec_lo, s3
	global_load_u8 v1, v[40:41], off offset:1
	s_waitcnt vmcnt(0)
	v_lshl_or_b32 v0, v1, 8, v0
.LBB1_618:                              ;   in Loop: Header=BB1_569 Depth=2
	s_or_b32 exec_lo, exec_lo, s0
	global_load_u8 v1, v[40:41], off
	v_sub_nc_u32_e32 v2, 4, v8
	v_dual_mov_b32 v10, v5 :: v_dual_lshlrev_b32 v13, 3, v8
	v_add_nc_u32_e32 v11, v42, v8
	s_mov_b32 s3, 0
	s_delay_alu instid0(VALU_DEP_3) | instskip(SKIP_4) | instid1(VALU_DEP_3)
	v_lshlrev_b32_e32 v14, 3, v2
	s_waitcnt vmcnt(0)
	v_or_b32_e32 v3, v0, v1
	v_add_co_u32 v0, vcc_lo, v40, v2
	v_add_co_ci_u32_e32 v1, vcc_lo, 0, v41, vcc_lo
	v_lshlrev_b32_e32 v2, v13, v3
	.p2align	6
.LBB1_619:                              ;   Parent Loop BB1_13 Depth=1
                                        ;     Parent Loop BB1_569 Depth=2
                                        ; =>    This Inner Loop Header: Depth=3
	global_load_b32 v9, v[0:1], off
	v_lshrrev_b32_e32 v2, v13, v2
	v_add_nc_u32_e32 v11, -4, v11
	v_add_co_u32 v0, vcc_lo, v0, 4
	v_add_co_ci_u32_e32 v1, vcc_lo, 0, v1, vcc_lo
	s_waitcnt vmcnt(0)
	v_lshl_or_b32 v2, v9, v14, v2
	s_delay_alu instid0(VALU_DEP_1) | instskip(NEXT) | instid1(VALU_DEP_1)
	v_mul_lo_u32 v2, 0x5bd1e995, v2
	v_lshrrev_b32_e32 v3, 24, v2
	s_delay_alu instid0(VALU_DEP_1) | instskip(SKIP_1) | instid1(VALU_DEP_2)
	v_xor_b32_e32 v2, v3, v2
	v_mul_lo_u32 v3, 0x5bd1e995, v10
	v_mul_lo_u32 v10, 0x5bd1e995, v2
	v_mov_b32_e32 v2, v9
	v_cmp_gt_u32_e64 s0, 8, v11
	s_delay_alu instid0(VALU_DEP_1) | instskip(NEXT) | instid1(VALU_DEP_3)
	s_or_b32 s3, s0, s3
	v_xor_b32_e32 v10, v10, v3
	s_and_not1_b32 exec_lo, exec_lo, s3
	s_cbranch_execnz .LBB1_619
; %bb.620:                              ;   in Loop: Header=BB1_569 Depth=2
	s_or_b32 exec_lo, exec_lo, s3
	v_add_co_u32 v2, vcc_lo, v0, -4
	v_add_nc_u32_e32 v15, -4, v11
	v_add_co_ci_u32_e32 v3, vcc_lo, -1, v1, vcc_lo
	s_mov_b32 s0, exec_lo
                                        ; implicit-def: $vgpr12
	s_delay_alu instid0(VALU_DEP_2)
	v_cmpx_ge_i32_e64 v15, v8
	s_xor_b32 s0, exec_lo, s0
	s_cbranch_execz .LBB1_630
; %bb.621:                              ;   in Loop: Header=BB1_569 Depth=2
	s_mov_b32 s3, 0
	s_mov_b32 s8, exec_lo
                                        ; implicit-def: $vgpr12
	v_cmpx_lt_i32_e32 2, v8
	s_xor_b32 s8, exec_lo, s8
	s_cbranch_execnz .LBB1_681
; %bb.622:                              ;   in Loop: Header=BB1_569 Depth=2
	s_or_saveexec_b32 s8, s8
                                        ; implicit-def: $sgpr9
	s_delay_alu instid0(SALU_CYCLE_1)
	s_xor_b32 exec_lo, exec_lo, s8
	s_cbranch_execnz .LBB1_682
.LBB1_623:                              ;   in Loop: Header=BB1_569 Depth=2
	s_or_b32 exec_lo, exec_lo, s8
	v_mov_b32_e32 v16, s9
	s_and_saveexec_b32 s8, s3
	s_cbranch_execz .LBB1_625
.LBB1_624:                              ;   in Loop: Header=BB1_569 Depth=2
	global_load_u8 v16, v[2:3], off offset:5
	s_waitcnt vmcnt(0)
	v_lshl_or_b32 v16, v16, 8, v12
.LBB1_625:                              ;   in Loop: Header=BB1_569 Depth=2
	s_or_b32 exec_lo, exec_lo, s8
	global_load_u8 v12, v[0:1], off
	v_lshrrev_b32_e32 v13, v13, v9
	v_add_co_u32 v2, vcc_lo, v2, v8
	v_add_co_ci_u32_e32 v3, vcc_lo, 0, v3, vcc_lo
	s_mov_b32 s3, 0
	s_mov_b32 s8, exec_lo
	s_waitcnt vmcnt(0)
	v_or_b32_e32 v12, v16, v12
	s_delay_alu instid0(VALU_DEP_1) | instskip(SKIP_1) | instid1(VALU_DEP_2)
	v_lshl_or_b32 v12, v12, v14, v13
	v_mul_lo_u32 v14, 0x5bd1e995, v10
	v_mul_lo_u32 v12, 0x5bd1e995, v12
	s_delay_alu instid0(VALU_DEP_1) | instskip(NEXT) | instid1(VALU_DEP_1)
	v_lshrrev_b32_e32 v13, 24, v12
	v_xor_b32_e32 v12, v13, v12
	v_sub_nc_u32_e32 v13, v15, v8
	s_delay_alu instid0(VALU_DEP_2) | instskip(NEXT) | instid1(VALU_DEP_1)
	v_mul_lo_u32 v12, 0x5bd1e995, v12
	v_xor_b32_e32 v12, v12, v14
	s_delay_alu instid0(VALU_DEP_3)
	v_cmpx_lt_i32_e32 1, v13
	s_xor_b32 s8, exec_lo, s8
	s_cbranch_execnz .LBB1_683
; %bb.626:                              ;   in Loop: Header=BB1_569 Depth=2
	s_and_not1_saveexec_b32 s8, s8
	s_cbranch_execnz .LBB1_686
.LBB1_627:                              ;   in Loop: Header=BB1_569 Depth=2
	s_or_b32 exec_lo, exec_lo, s8
	s_and_saveexec_b32 s8, s3
	s_cbranch_execz .LBB1_629
.LBB1_628:                              ;   in Loop: Header=BB1_569 Depth=2
	global_load_u8 v2, v[2:3], off offset:4
	s_waitcnt vmcnt(0)
	v_xor_b32_e32 v2, v12, v2
	s_delay_alu instid0(VALU_DEP_1)
	v_mul_lo_u32 v12, 0x5bd1e995, v2
.LBB1_629:                              ;   in Loop: Header=BB1_569 Depth=2
	s_or_b32 exec_lo, exec_lo, s8
                                        ; implicit-def: $vgpr13
                                        ; implicit-def: $vgpr14
                                        ; implicit-def: $vgpr2_vgpr3
.LBB1_630:                              ;   in Loop: Header=BB1_569 Depth=2
	s_and_not1_saveexec_b32 s0, s0
	s_cbranch_execz .LBB1_673
; %bb.631:                              ;   in Loop: Header=BB1_569 Depth=2
	s_mov_b32 s3, 0
	s_mov_b32 s8, exec_lo
                                        ; implicit-def: $vgpr8
	v_cmpx_lt_i32_e32 5, v11
	s_xor_b32 s8, exec_lo, s8
	s_cbranch_execnz .LBB1_687
; %bb.632:                              ;   in Loop: Header=BB1_569 Depth=2
	s_or_saveexec_b32 s8, s8
                                        ; implicit-def: $sgpr9
	s_delay_alu instid0(SALU_CYCLE_1)
	s_xor_b32 exec_lo, exec_lo, s8
	s_cbranch_execnz .LBB1_688
.LBB1_633:                              ;   in Loop: Header=BB1_569 Depth=2
	s_or_b32 exec_lo, exec_lo, s8
	v_mov_b32_e32 v2, s9
	s_and_saveexec_b32 s8, s3
	s_cbranch_execz .LBB1_635
.LBB1_634:                              ;   in Loop: Header=BB1_569 Depth=2
	global_load_u8 v0, v[0:1], off
	s_waitcnt vmcnt(0)
	v_or_b32_e32 v2, v8, v0
.LBB1_635:                              ;   in Loop: Header=BB1_569 Depth=2
	s_or_b32 exec_lo, exec_lo, s8
	v_lshrrev_b32_e32 v0, v13, v9
	s_delay_alu instid0(VALU_DEP_1) | instskip(NEXT) | instid1(VALU_DEP_1)
	v_lshl_or_b32 v0, v2, v14, v0
	v_xor_b32_e32 v0, v0, v10
	s_delay_alu instid0(VALU_DEP_1)
	v_mul_lo_u32 v12, 0x5bd1e995, v0
	s_or_b32 exec_lo, exec_lo, s0
.LBB1_636:                              ;   in Loop: Header=BB1_569 Depth=2
	s_and_not1_saveexec_b32 s1, s1
	s_cbranch_execz .LBB1_644
.LBB1_637:                              ;   in Loop: Header=BB1_569 Depth=2
	v_mov_b32_e32 v0, v40
	v_dual_mov_b32 v2, v6 :: v_dual_mov_b32 v1, v41
	v_mov_b32_e32 v12, v5
	s_mov_b32 s3, 0
	.p2align	6
.LBB1_638:                              ;   Parent Loop BB1_13 Depth=1
                                        ;     Parent Loop BB1_569 Depth=2
                                        ; =>    This Inner Loop Header: Depth=3
	global_load_b32 v3, v[0:1], off
	v_add_nc_u32_e32 v2, -4, v2
	v_add_co_u32 v0, vcc_lo, v0, 4
	v_add_co_ci_u32_e32 v1, vcc_lo, 0, v1, vcc_lo
	s_delay_alu instid0(VALU_DEP_3) | instskip(NEXT) | instid1(VALU_DEP_1)
	v_cmp_gt_u32_e64 s0, 8, v2
	s_or_b32 s3, s0, s3
	s_waitcnt vmcnt(0)
	v_mul_lo_u32 v3, 0x5bd1e995, v3
	s_delay_alu instid0(VALU_DEP_1) | instskip(NEXT) | instid1(VALU_DEP_1)
	v_lshrrev_b32_e32 v8, 24, v3
	v_xor_b32_e32 v3, v8, v3
	v_mul_lo_u32 v8, 0x5bd1e995, v12
	s_delay_alu instid0(VALU_DEP_2) | instskip(NEXT) | instid1(VALU_DEP_1)
	v_mul_lo_u32 v3, 0x5bd1e995, v3
	v_xor_b32_e32 v12, v3, v8
	s_and_not1_b32 exec_lo, exec_lo, s3
	s_cbranch_execnz .LBB1_638
; %bb.639:                              ;   in Loop: Header=BB1_569 Depth=2
	s_or_b32 exec_lo, exec_lo, s3
	s_mov_b32 s0, 0
	s_mov_b32 s3, exec_lo
                                        ; implicit-def: $vgpr3
	v_cmpx_lt_i32_e32 5, v2
	s_xor_b32 s3, exec_lo, s3
	s_cbranch_execnz .LBB1_674
; %bb.640:                              ;   in Loop: Header=BB1_569 Depth=2
	s_and_not1_saveexec_b32 s3, s3
	s_cbranch_execnz .LBB1_677
.LBB1_641:                              ;   in Loop: Header=BB1_569 Depth=2
	s_or_b32 exec_lo, exec_lo, s3
	s_and_saveexec_b32 s3, s0
	s_cbranch_execz .LBB1_643
.LBB1_642:                              ;   in Loop: Header=BB1_569 Depth=2
	global_load_u8 v0, v[0:1], off
	s_waitcnt vmcnt(0)
	v_xor_b32_e32 v0, v3, v0
	s_delay_alu instid0(VALU_DEP_1)
	v_mul_lo_u32 v12, 0x5bd1e995, v0
.LBB1_643:                              ;   in Loop: Header=BB1_569 Depth=2
	s_or_b32 exec_lo, exec_lo, s3
.LBB1_644:                              ;   in Loop: Header=BB1_569 Depth=2
	s_delay_alu instid0(SALU_CYCLE_1) | instskip(NEXT) | instid1(VALU_DEP_1)
	s_or_b32 exec_lo, exec_lo, s1
	v_lshrrev_b32_e32 v0, 13, v12
	v_mov_b32_e32 v2, -1
	s_mov_b32 s3, exec_lo
	s_delay_alu instid0(VALU_DEP_2) | instskip(NEXT) | instid1(VALU_DEP_1)
	v_xor_b32_e32 v0, v0, v12
	v_mul_lo_u32 v0, 0x5bd1e995, v0
	s_delay_alu instid0(VALU_DEP_1) | instskip(NEXT) | instid1(VALU_DEP_1)
	v_lshrrev_b32_e32 v1, 15, v0
	v_xor_b32_e32 v0, v1, v0
	s_delay_alu instid0(VALU_DEP_1) | instskip(NEXT) | instid1(VALU_DEP_1)
	v_mul_hi_u32 v1, v0, v88
	v_mul_lo_u32 v1, v1, v45
	s_delay_alu instid0(VALU_DEP_1) | instskip(NEXT) | instid1(VALU_DEP_1)
	v_sub_nc_u32_e32 v0, v0, v1
	v_sub_nc_u32_e32 v1, v0, v45
	v_cmp_ge_u32_e32 vcc_lo, v0, v45
	s_delay_alu instid0(VALU_DEP_2) | instskip(NEXT) | instid1(VALU_DEP_1)
	v_cndmask_b32_e32 v0, v0, v1, vcc_lo
	v_sub_nc_u32_e32 v1, v0, v45
	v_cmp_ge_u32_e32 vcc_lo, v0, v45
	s_delay_alu instid0(VALU_DEP_2) | instskip(NEXT) | instid1(VALU_DEP_1)
	v_cndmask_b32_e32 v8, v0, v1, vcc_lo
	v_mad_u64_u32 v[0:1], null, v8, 56, v[43:44]
	global_load_b32 v9, v[0:1], off offset:8
	s_waitcnt vmcnt(0)
	v_cmpx_ne_u32_e32 -1, v9
	s_cbranch_execz .LBB1_661
; %bb.645:                              ;   in Loop: Header=BB1_569 Depth=2
	s_mov_b32 s8, 0
	s_branch .LBB1_647
.LBB1_646:                              ;   in Loop: Header=BB1_647 Depth=3
	s_or_b32 exec_lo, exec_lo, s9
	s_delay_alu instid0(SALU_CYCLE_1) | instskip(NEXT) | instid1(SALU_CYCLE_1)
	s_and_b32 s0, exec_lo, s0
	s_or_b32 s8, s0, s8
	s_delay_alu instid0(SALU_CYCLE_1)
	s_and_not1_b32 exec_lo, exec_lo, s8
	s_cbranch_execz .LBB1_660
.LBB1_647:                              ;   Parent Loop BB1_13 Depth=1
                                        ;     Parent Loop BB1_569 Depth=2
                                        ; =>    This Loop Header: Depth=3
                                        ;         Child Loop BB1_649 Depth 4
	global_load_b64 v[2:3], v[0:1], off
	s_mov_b64 s[0:1], 0
	s_mov_b32 s10, 0
                                        ; implicit-def: $sgpr9
                                        ; implicit-def: $sgpr12
                                        ; implicit-def: $sgpr11
	s_set_inst_prefetch_distance 0x1
	s_branch .LBB1_649
	.p2align	6
.LBB1_648:                              ;   in Loop: Header=BB1_649 Depth=4
	s_or_b32 exec_lo, exec_lo, s13
	s_xor_b32 s13, s11, -1
	s_and_b32 s14, exec_lo, s12
	s_delay_alu instid0(SALU_CYCLE_1) | instskip(SKIP_2) | instid1(SALU_CYCLE_1)
	s_or_b32 s10, s14, s10
	s_and_not1_b32 s9, s9, exec_lo
	s_and_b32 s13, s13, exec_lo
	s_or_b32 s9, s9, s13
	s_and_not1_b32 exec_lo, exec_lo, s10
	s_cbranch_execz .LBB1_651
.LBB1_649:                              ;   Parent Loop BB1_13 Depth=1
                                        ;     Parent Loop BB1_569 Depth=2
                                        ;       Parent Loop BB1_647 Depth=3
                                        ; =>      This Inner Loop Header: Depth=4
	s_waitcnt vmcnt(0)
	v_add_co_u32 v10, vcc_lo, v2, s0
	v_add_co_ci_u32_e32 v11, vcc_lo, s1, v3, vcc_lo
	v_add_co_u32 v12, vcc_lo, v40, s0
	v_add_co_ci_u32_e32 v13, vcc_lo, s1, v41, vcc_lo
	s_or_b32 s11, s11, exec_lo
	flat_load_u8 v10, v[10:11]
	global_load_u8 v11, v[12:13], off
	s_or_b32 s12, s12, exec_lo
	s_mov_b32 s13, exec_lo
	s_waitcnt vmcnt(0) lgkmcnt(0)
	v_cmpx_eq_u16_e64 v10, v11
	s_cbranch_execz .LBB1_648
; %bb.650:                              ;   in Loop: Header=BB1_649 Depth=4
	s_add_u32 s0, s0, 1
	s_addc_u32 s1, s1, 0
	v_cmp_eq_u32_e32 vcc_lo, s0, v42
	s_and_not1_b32 s12, s12, exec_lo
	s_and_not1_b32 s11, s11, exec_lo
	s_and_b32 s14, vcc_lo, exec_lo
	s_delay_alu instid0(SALU_CYCLE_1)
	s_or_b32 s12, s12, s14
	s_branch .LBB1_648
.LBB1_651:                              ;   in Loop: Header=BB1_647 Depth=3
	s_set_inst_prefetch_distance 0x2
	s_or_b32 exec_lo, exec_lo, s10
	s_mov_b32 s0, -1
	s_mov_b32 s1, -1
	s_and_saveexec_b32 s10, s9
	s_delay_alu instid0(SALU_CYCLE_1)
	s_xor_b32 s9, exec_lo, s10
; %bb.652:                              ;   in Loop: Header=BB1_647 Depth=3
	v_cmp_ne_u32_e32 vcc_lo, v9, v42
	s_or_not1_b32 s1, vcc_lo, exec_lo
; %bb.653:                              ;   in Loop: Header=BB1_647 Depth=3
	s_or_b32 exec_lo, exec_lo, s9
	v_mov_b32_e32 v2, v42
                                        ; implicit-def: $vgpr9
	s_and_saveexec_b32 s9, s1
	s_cbranch_execz .LBB1_646
; %bb.654:                              ;   in Loop: Header=BB1_647 Depth=3
	v_add_nc_u32_e32 v0, 1, v8
	v_mov_b32_e32 v2, -1
	s_delay_alu instid0(VALU_DEP_2) | instskip(SKIP_1) | instid1(VALU_DEP_1)
	v_cmp_ne_u32_e32 vcc_lo, v0, v45
	v_cndmask_b32_e32 v8, 0, v0, vcc_lo
	v_mad_u64_u32 v[0:1], null, v8, 56, v[43:44]
	global_load_b32 v9, v[0:1], off offset:8
	s_waitcnt vmcnt(0)
	v_cmp_eq_u32_e32 vcc_lo, -1, v9
	s_or_not1_b32 s0, vcc_lo, exec_lo
	s_branch .LBB1_646
.LBB1_655:                              ;   in Loop: Header=BB1_569 Depth=2
	s_or_b32 exec_lo, exec_lo, s1
	s_and_not1_saveexec_b32 s2, s2
	s_cbranch_execnz .LBB1_593
	s_branch .LBB1_600
.LBB1_656:                              ;   in Loop: Header=BB1_569 Depth=2
	v_mov_b32_e32 v3, v12
	s_mov_b32 s1, exec_lo
	v_cmpx_lt_i32_e32 6, v2
	s_cbranch_execz .LBB1_658
; %bb.657:                              ;   in Loop: Header=BB1_569 Depth=2
	global_load_u8 v3, v[0:1], off offset:2
	s_waitcnt vmcnt(0)
	v_lshlrev_b32_e32 v3, 16, v3
	s_delay_alu instid0(VALU_DEP_1)
	v_xor_b32_e32 v3, v3, v12
.LBB1_658:                              ;   in Loop: Header=BB1_569 Depth=2
	s_or_b32 exec_lo, exec_lo, s1
	global_load_u8 v9, v[0:1], off offset:1
	s_mov_b32 s1, exec_lo
	s_waitcnt vmcnt(0)
	v_lshlrev_b32_e32 v9, 8, v9
	s_delay_alu instid0(VALU_DEP_1)
	v_xor_b32_e32 v3, v9, v3
	s_and_not1_saveexec_b32 s3, s3
	s_cbranch_execz .LBB1_597
.LBB1_659:                              ;   in Loop: Header=BB1_569 Depth=2
	v_cmp_eq_u32_e64 s0, 5, v2
	v_mov_b32_e32 v3, v12
	s_and_not1_b32 s1, s1, exec_lo
	s_delay_alu instid0(VALU_DEP_2) | instskip(NEXT) | instid1(SALU_CYCLE_1)
	s_and_b32 s0, s0, exec_lo
	s_or_b32 s1, s1, s0
	s_or_b32 exec_lo, exec_lo, s3
	s_and_saveexec_b32 s0, s1
	s_cbranch_execnz .LBB1_598
	s_branch .LBB1_599
.LBB1_660:                              ;   in Loop: Header=BB1_569 Depth=2
	s_or_b32 exec_lo, exec_lo, s8
.LBB1_661:                              ;   in Loop: Header=BB1_569 Depth=2
	s_delay_alu instid0(SALU_CYCLE_1)
	s_or_b32 exec_lo, exec_lo, s3
	v_cmp_ne_u32_e32 vcc_lo, -1, v2
	v_mov_b32_e32 v2, 0x58
	s_mov_b32 s1, -1
	s_and_saveexec_b32 s0, vcc_lo
	s_cbranch_execz .LBB1_567
; %bb.662:                              ;   in Loop: Header=BB1_569 Depth=2
	global_load_u8 v2, v[0:1], off offset:48
	s_mov_b32 s3, 0
	s_mov_b32 s8, exec_lo
                                        ; implicit-def: $sgpr1
	s_waitcnt vmcnt(0)
	v_cmpx_lt_i16_e32 0x57, v2
	s_xor_b32 s8, exec_lo, s8
	s_cbranch_execnz .LBB1_678
; %bb.663:                              ;   in Loop: Header=BB1_569 Depth=2
	s_and_not1_saveexec_b32 s8, s8
	s_cbranch_execnz .LBB1_679
.LBB1_664:                              ;   in Loop: Header=BB1_569 Depth=2
	s_or_b32 exec_lo, exec_lo, s8
	s_and_saveexec_b32 s8, s3
	s_cbranch_execz .LBB1_566
	s_branch .LBB1_680
.LBB1_665:                              ;   in Loop: Header=BB1_569 Depth=2
	global_load_u8 v12, v[2:3], off offset:6
	s_mov_b32 s3, exec_lo
	s_waitcnt vmcnt(0)
	v_lshlrev_b32_e32 v12, 16, v12
	s_or_saveexec_b32 s8, s0
                                        ; implicit-def: $sgpr0
	s_delay_alu instid0(SALU_CYCLE_1)
	s_xor_b32 exec_lo, exec_lo, s8
	s_cbranch_execz .LBB1_579
.LBB1_666:                              ;   in Loop: Header=BB1_569 Depth=2
	v_cmp_eq_u32_e64 s0, 2, v8
	v_mov_b32_e32 v12, 0
	s_and_not1_b32 s3, s3, exec_lo
	s_delay_alu instid0(VALU_DEP_2)
	s_and_b32 s9, s0, exec_lo
	s_mov_b32 s0, 0
	s_or_b32 s3, s3, s9
	s_or_b32 exec_lo, exec_lo, s8
	v_mov_b32_e32 v16, s0
	s_and_saveexec_b32 s0, s3
	s_cbranch_execnz .LBB1_580
	s_branch .LBB1_581
.LBB1_667:                              ;   in Loop: Header=BB1_569 Depth=2
	s_mov_b32 s9, exec_lo
	v_cmpx_eq_u32_e32 2, v13
	s_cbranch_execz .LBB1_669
; %bb.668:                              ;   in Loop: Header=BB1_569 Depth=2
	global_load_u8 v13, v[2:3], off offset:5
	s_mov_b32 s3, exec_lo
	s_waitcnt vmcnt(0)
	v_lshlrev_b32_e32 v13, 8, v13
	s_delay_alu instid0(VALU_DEP_1)
	v_xor_b32_e32 v12, v13, v12
.LBB1_669:                              ;   in Loop: Header=BB1_569 Depth=2
	s_or_b32 exec_lo, exec_lo, s9
	s_delay_alu instid0(SALU_CYCLE_1)
	s_and_b32 s3, s3, exec_lo
                                        ; implicit-def: $vgpr13
	s_and_not1_saveexec_b32 s8, s8
	s_cbranch_execz .LBB1_583
.LBB1_670:                              ;   in Loop: Header=BB1_569 Depth=2
	v_cmp_eq_u32_e64 s0, 1, v13
	s_and_not1_b32 s3, s3, exec_lo
	s_delay_alu instid0(VALU_DEP_1) | instskip(NEXT) | instid1(SALU_CYCLE_1)
	s_and_b32 s0, s0, exec_lo
	s_or_b32 s3, s3, s0
	s_or_b32 exec_lo, exec_lo, s8
	s_and_saveexec_b32 s0, s3
	s_cbranch_execnz .LBB1_584
	s_branch .LBB1_585
.LBB1_671:                              ;   in Loop: Header=BB1_569 Depth=2
	global_load_u8 v2, v[2:3], off offset:5
	s_mov_b32 s3, exec_lo
	s_waitcnt vmcnt(0)
	v_lshlrev_b32_e32 v12, 8, v2
	s_or_saveexec_b32 s8, s0
                                        ; implicit-def: $sgpr0
	s_delay_alu instid0(SALU_CYCLE_1)
	s_xor_b32 exec_lo, exec_lo, s8
	s_cbranch_execz .LBB1_589
.LBB1_672:                              ;   in Loop: Header=BB1_569 Depth=2
	v_cmp_eq_u32_e64 s0, 5, v11
	v_mov_b32_e32 v12, 0
	s_and_not1_b32 s3, s3, exec_lo
	s_delay_alu instid0(VALU_DEP_2)
	s_and_b32 s9, s0, exec_lo
	s_mov_b32 s0, 0
	s_or_b32 s3, s3, s9
	s_or_b32 exec_lo, exec_lo, s8
	v_mov_b32_e32 v2, s0
	s_and_saveexec_b32 s0, s3
	s_cbranch_execnz .LBB1_590
	s_branch .LBB1_591
.LBB1_673:                              ;   in Loop: Header=BB1_569 Depth=2
	s_or_b32 exec_lo, exec_lo, s0
	s_and_not1_saveexec_b32 s1, s1
	s_cbranch_execnz .LBB1_637
	s_branch .LBB1_644
.LBB1_674:                              ;   in Loop: Header=BB1_569 Depth=2
	v_mov_b32_e32 v3, v12
	s_mov_b32 s0, exec_lo
	v_cmpx_lt_i32_e32 6, v2
	s_cbranch_execz .LBB1_676
; %bb.675:                              ;   in Loop: Header=BB1_569 Depth=2
	global_load_u8 v3, v[0:1], off offset:2
	s_waitcnt vmcnt(0)
	v_lshlrev_b32_e32 v3, 16, v3
	s_delay_alu instid0(VALU_DEP_1)
	v_xor_b32_e32 v3, v3, v12
.LBB1_676:                              ;   in Loop: Header=BB1_569 Depth=2
	s_or_b32 exec_lo, exec_lo, s0
	global_load_u8 v8, v[0:1], off offset:1
	s_mov_b32 s0, exec_lo
	s_waitcnt vmcnt(0)
	v_lshlrev_b32_e32 v8, 8, v8
	s_delay_alu instid0(VALU_DEP_1)
	v_xor_b32_e32 v3, v8, v3
	s_and_not1_saveexec_b32 s3, s3
	s_cbranch_execz .LBB1_641
.LBB1_677:                              ;   in Loop: Header=BB1_569 Depth=2
	v_cmp_eq_u32_e32 vcc_lo, 5, v2
	v_mov_b32_e32 v3, v12
	s_and_not1_b32 s0, s0, exec_lo
	s_and_b32 s8, vcc_lo, exec_lo
	s_delay_alu instid0(SALU_CYCLE_1)
	s_or_b32 s0, s0, s8
	s_or_b32 exec_lo, exec_lo, s3
	s_and_saveexec_b32 s3, s0
	s_cbranch_execnz .LBB1_642
	s_branch .LBB1_643
.LBB1_678:                              ;   in Loop: Header=BB1_569 Depth=2
	v_cmp_ne_u16_e32 vcc_lo, 0x58, v2
	s_mov_b32 s1, -1
	s_and_b32 s3, vcc_lo, exec_lo
	s_and_not1_saveexec_b32 s8, s8
	s_cbranch_execz .LBB1_664
.LBB1_679:                              ;   in Loop: Header=BB1_569 Depth=2
	v_cmp_ne_u16_e32 vcc_lo, 0x46, v2
	s_and_not1_b32 s3, s3, exec_lo
	s_or_b32 s1, s1, exec_lo
	s_and_b32 s9, vcc_lo, exec_lo
	s_delay_alu instid0(SALU_CYCLE_1)
	s_or_b32 s3, s3, s9
	s_or_b32 exec_lo, exec_lo, s8
	s_and_saveexec_b32 s8, s3
	s_cbranch_execz .LBB1_566
.LBB1_680:                              ;   in Loop: Header=BB1_569 Depth=2
	v_add_co_u32 v0, vcc_lo, v40, v42
	v_add_co_ci_u32_e32 v1, vcc_lo, 0, v41, vcc_lo
	v_add_co_u32 v8, vcc_lo, v40, 1
	v_add_co_ci_u32_e32 v9, vcc_lo, 0, v41, vcc_lo
	v_cmp_ne_u16_e32 vcc_lo, 0, v2
	global_store_b8 v[0:1], v2, off
	v_dual_mov_b32 v2, v7 :: v_dual_mov_b32 v41, v9
	v_mov_b32_e32 v40, v8
	v_add_co_ci_u32_e32 v4, vcc_lo, 0, v4, vcc_lo
	s_and_not1_b32 s1, s1, exec_lo
	s_branch .LBB1_566
.LBB1_681:                              ;   in Loop: Header=BB1_569 Depth=2
	global_load_u8 v12, v[2:3], off offset:6
	s_mov_b32 s3, exec_lo
	s_waitcnt vmcnt(0)
	v_lshlrev_b32_e32 v12, 16, v12
	s_or_saveexec_b32 s8, s8
                                        ; implicit-def: $sgpr9
	s_delay_alu instid0(SALU_CYCLE_1)
	s_xor_b32 exec_lo, exec_lo, s8
	s_cbranch_execz .LBB1_623
.LBB1_682:                              ;   in Loop: Header=BB1_569 Depth=2
	v_cmp_eq_u32_e32 vcc_lo, 2, v8
	v_mov_b32_e32 v12, 0
	s_and_not1_b32 s3, s3, exec_lo
	s_mov_b32 s9, 0
	s_and_b32 s10, vcc_lo, exec_lo
	s_delay_alu instid0(SALU_CYCLE_1)
	s_or_b32 s3, s3, s10
	s_or_b32 exec_lo, exec_lo, s8
	v_mov_b32_e32 v16, s9
	s_and_saveexec_b32 s8, s3
	s_cbranch_execnz .LBB1_624
	s_branch .LBB1_625
.LBB1_683:                              ;   in Loop: Header=BB1_569 Depth=2
	s_mov_b32 s9, exec_lo
	v_cmpx_eq_u32_e32 2, v13
	s_cbranch_execz .LBB1_685
; %bb.684:                              ;   in Loop: Header=BB1_569 Depth=2
	global_load_u8 v8, v[2:3], off offset:5
	s_mov_b32 s3, exec_lo
	s_waitcnt vmcnt(0)
	v_lshlrev_b32_e32 v8, 8, v8
	s_delay_alu instid0(VALU_DEP_1)
	v_xor_b32_e32 v12, v8, v12
.LBB1_685:                              ;   in Loop: Header=BB1_569 Depth=2
	s_or_b32 exec_lo, exec_lo, s9
	s_delay_alu instid0(SALU_CYCLE_1)
	s_and_b32 s3, s3, exec_lo
                                        ; implicit-def: $vgpr13
	s_and_not1_saveexec_b32 s8, s8
	s_cbranch_execz .LBB1_627
.LBB1_686:                              ;   in Loop: Header=BB1_569 Depth=2
	v_cmp_eq_u32_e32 vcc_lo, 1, v13
	s_and_not1_b32 s3, s3, exec_lo
	s_and_b32 s9, vcc_lo, exec_lo
	s_delay_alu instid0(SALU_CYCLE_1)
	s_or_b32 s3, s3, s9
	s_or_b32 exec_lo, exec_lo, s8
	s_and_saveexec_b32 s8, s3
	s_cbranch_execnz .LBB1_628
	s_branch .LBB1_629
.LBB1_687:                              ;   in Loop: Header=BB1_569 Depth=2
	global_load_u8 v2, v[2:3], off offset:5
	s_mov_b32 s3, exec_lo
	s_waitcnt vmcnt(0)
	v_lshlrev_b32_e32 v8, 8, v2
	s_or_saveexec_b32 s8, s8
                                        ; implicit-def: $sgpr9
	s_delay_alu instid0(SALU_CYCLE_1)
	s_xor_b32 exec_lo, exec_lo, s8
	s_cbranch_execz .LBB1_633
.LBB1_688:                              ;   in Loop: Header=BB1_569 Depth=2
	v_cmp_eq_u32_e32 vcc_lo, 5, v11
	v_mov_b32_e32 v8, 0
	s_and_not1_b32 s3, s3, exec_lo
	s_mov_b32 s9, 0
	s_and_b32 s10, vcc_lo, exec_lo
	s_delay_alu instid0(SALU_CYCLE_1)
	s_or_b32 s3, s3, s10
	s_or_b32 exec_lo, exec_lo, s8
	v_mov_b32_e32 v2, s9
	s_and_saveexec_b32 s8, s3
	s_cbranch_execnz .LBB1_634
	s_branch .LBB1_635
.LBB1_689:                              ;   in Loop: Header=BB1_13 Depth=1
	s_or_b32 exec_lo, exec_lo, s6
	s_delay_alu instid0(SALU_CYCLE_1)
	s_mov_b32 s1, exec_lo
	v_cmpx_gt_i32_e64 v4, v96
	s_cbranch_execnz .LBB1_691
	s_branch .LBB1_695
.LBB1_690:                              ;   in Loop: Header=BB1_13 Depth=1
	v_mov_b32_e32 v2, 0x58
	v_mov_b32_e32 v4, 0
	s_mov_b32 s1, exec_lo
	s_delay_alu instid0(VALU_DEP_1)
	v_cmpx_gt_i32_e64 v4, v96
	s_cbranch_execz .LBB1_695
.LBB1_691:                              ;   in Loop: Header=BB1_13 Depth=1
	s_mov_b32 s6, exec_lo
	v_cmpx_lt_i32_e32 0, v4
	s_cbranch_execz .LBB1_694
; %bb.692:                              ;   in Loop: Header=BB1_13 Depth=1
	v_add_co_u32 v0, vcc_lo, v64, v42
	v_add_co_ci_u32_e32 v1, vcc_lo, 0, v65, vcc_lo
	s_mov_b64 s[2:3], 0
	s_mov_b32 s7, 0
	.p2align	6
.LBB1_693:                              ;   Parent Loop BB1_13 Depth=1
                                        ; =>  This Inner Loop Header: Depth=2
	s_delay_alu instid0(VALU_DEP_2) | instskip(NEXT) | instid1(VALU_DEP_2)
	v_add_co_u32 v5, vcc_lo, v0, s2
	v_add_co_ci_u32_e32 v6, vcc_lo, s3, v1, vcc_lo
	global_load_u8 v3, v[5:6], off
	v_add_co_u32 v5, vcc_lo, v68, s2
	s_add_u32 s2, s2, 1
	v_add_co_ci_u32_e32 v6, vcc_lo, s3, v69, vcc_lo
	v_cmp_eq_u32_e64 s0, s2, v4
	s_addc_u32 s3, s3, 0
	s_delay_alu instid0(VALU_DEP_1)
	s_or_b32 s7, s0, s7
	s_waitcnt vmcnt(0)
	global_store_b8 v[5:6], v3, off
	s_and_not1_b32 exec_lo, exec_lo, s7
	s_cbranch_execnz .LBB1_693
.LBB1_694:                              ;   in Loop: Header=BB1_13 Depth=1
	s_or_b32 exec_lo, exec_lo, s6
	v_mov_b32_e32 v96, v4
.LBB1_695:                              ;   in Loop: Header=BB1_13 Depth=1
	s_or_b32 exec_lo, exec_lo, s1
	v_and_b32_e32 v0, 0xff, v2
	s_mov_b32 s0, 0
	s_mov_b32 s1, exec_lo
                                        ; implicit-def: $sgpr7
                                        ; implicit-def: $sgpr6
                                        ; implicit-def: $sgpr2
                                        ; implicit-def: $sgpr3
	s_delay_alu instid0(VALU_DEP_1)
	v_cmpx_ne_u16_e32 0x58, v0
	s_xor_b32 s1, exec_lo, s1
; %bb.696:                              ;   in Loop: Header=BB1_13 Depth=1
	v_cmp_ne_u32_e32 vcc_lo, -8, v98
	s_mov_b32 s2, -8
	s_mov_b32 s3, 0
	s_mov_b32 s6, 11
	;; [unrolled: 1-line block ×3, first 2 shown]
	s_and_b32 s0, vcc_lo, exec_lo
                                        ; implicit-def: $vgpr98
; %bb.697:                              ;   in Loop: Header=BB1_13 Depth=1
	s_or_saveexec_b32 s1, s1
	v_dual_mov_b32 v2, s7 :: v_dual_mov_b32 v1, s6
	v_dual_mov_b32 v3, s2 :: v_dual_mov_b32 v0, s3
	s_xor_b32 exec_lo, exec_lo, s1
; %bb.698:                              ;   in Loop: Header=BB1_13 Depth=1
	v_cmp_ne_u32_e32 vcc_lo, 8, v98
	v_dual_mov_b32 v2, -8 :: v_dual_mov_b32 v1, 11
	v_dual_mov_b32 v3, 8 :: v_dual_mov_b32 v0, 0
	s_and_not1_b32 s0, s0, exec_lo
	s_and_b32 s2, vcc_lo, exec_lo
	s_delay_alu instid0(SALU_CYCLE_1)
	s_or_b32 s0, s0, s2
; %bb.699:                              ;   in Loop: Header=BB1_13 Depth=1
	s_or_b32 exec_lo, exec_lo, s1
	v_mov_b32_e32 v98, v3
	s_and_saveexec_b32 s1, s0
; %bb.700:                              ;   in Loop: Header=BB1_13 Depth=1
	v_dual_mov_b32 v1, 0 :: v_dual_mov_b32 v0, v97
	v_mov_b32_e32 v98, v2
; %bb.701:                              ;   in Loop: Header=BB1_13 Depth=1
	s_or_b32 exec_lo, exec_lo, s1
	s_mov_b32 s0, -1
	s_mov_b32 s1, exec_lo
	v_cmpx_gt_i32_e32 11, v1
; %bb.702:                              ;   in Loop: Header=BB1_13 Depth=1
	v_cmp_eq_u32_e32 vcc_lo, 0, v1
	s_or_not1_b32 s0, vcc_lo, exec_lo
; %bb.703:                              ;   in Loop: Header=BB1_13 Depth=1
	s_or_b32 exec_lo, exec_lo, s1
	v_mov_b32_e32 v97, v0
	s_or_not1_b32 s0, s0, exec_lo
.LBB1_704:                              ;   in Loop: Header=BB1_13 Depth=1
	s_or_b32 exec_lo, exec_lo, s5
	s_and_saveexec_b32 s1, s0
	s_cbranch_execz .LBB1_12
; %bb.705:                              ;   in Loop: Header=BB1_13 Depth=1
	ds_bpermute_b32 v97, v53, v97
	s_mov_b32 s0, -1
	s_mov_b32 s2, exec_lo
	s_waitcnt lgkmcnt(0)
	v_cmpx_ne_u32_e32 0, v97
	s_cbranch_execz .LBB1_11
; %bb.706:                              ;   in Loop: Header=BB1_13 Depth=1
	ds_bpermute_b32 v98, v53, v98
	s_waitcnt lgkmcnt(0)
	v_add_nc_u32_e32 v42, v98, v42
	s_delay_alu instid0(VALU_DEP_1) | instskip(SKIP_1) | instid1(VALU_DEP_1)
	v_cmp_gt_i32_e32 vcc_lo, 21, v42
	v_cmp_gt_i32_e64 s0, v42, v83
	s_or_b32 s0, vcc_lo, s0
	s_delay_alu instid0(SALU_CYCLE_1)
	s_or_not1_b32 s0, s0, exec_lo
	s_branch .LBB1_11
.LBB1_707:
	s_or_b32 exec_lo, exec_lo, s49
.LBB1_708:
	s_delay_alu instid0(SALU_CYCLE_1)
	s_or_b32 exec_lo, exec_lo, s40
	v_cmp_eq_u32_e32 vcc_lo, 0, v70
	s_and_b32 exec_lo, exec_lo, vcc_lo
	s_cbranch_execz .LBB1_710
; %bb.709:
	v_max_i32_e32 v0, 0, v96
	global_store_b32 v80, v0, s[56:57]
.LBB1_710:
	s_endpgm
	.section	.rodata,"a",@progbits
	.p2align	6, 0x0
	.amdhsa_kernel _Z22iterative_walks_kernelILi32EEvPjS0_PcS1_S1_S0_S0_PdP6loc_htS0_P11loc_ht_boolijS0_llliijS1_S1_S0_i
		.amdhsa_group_segment_fixed_size 0
		.amdhsa_private_segment_fixed_size 96
		.amdhsa_kernarg_size 432
		.amdhsa_user_sgpr_count 15
		.amdhsa_user_sgpr_dispatch_ptr 0
		.amdhsa_user_sgpr_queue_ptr 0
		.amdhsa_user_sgpr_kernarg_segment_ptr 1
		.amdhsa_user_sgpr_dispatch_id 0
		.amdhsa_user_sgpr_private_segment_size 0
		.amdhsa_wavefront_size32 1
		.amdhsa_uses_dynamic_stack 0
		.amdhsa_enable_private_segment 1
		.amdhsa_system_sgpr_workgroup_id_x 1
		.amdhsa_system_sgpr_workgroup_id_y 0
		.amdhsa_system_sgpr_workgroup_id_z 0
		.amdhsa_system_sgpr_workgroup_info 0
		.amdhsa_system_vgpr_workitem_id 0
		.amdhsa_next_free_vgpr 105
		.amdhsa_next_free_sgpr 62
		.amdhsa_reserve_vcc 1
		.amdhsa_float_round_mode_32 0
		.amdhsa_float_round_mode_16_64 0
		.amdhsa_float_denorm_mode_32 3
		.amdhsa_float_denorm_mode_16_64 3
		.amdhsa_dx10_clamp 1
		.amdhsa_ieee_mode 1
		.amdhsa_fp16_overflow 0
		.amdhsa_workgroup_processor_mode 1
		.amdhsa_memory_ordered 1
		.amdhsa_forward_progress 0
		.amdhsa_shared_vgpr_count 0
		.amdhsa_exception_fp_ieee_invalid_op 0
		.amdhsa_exception_fp_denorm_src 0
		.amdhsa_exception_fp_ieee_div_zero 0
		.amdhsa_exception_fp_ieee_overflow 0
		.amdhsa_exception_fp_ieee_underflow 0
		.amdhsa_exception_fp_ieee_inexact 0
		.amdhsa_exception_int_div_zero 0
	.end_amdhsa_kernel
	.section	.text._Z22iterative_walks_kernelILi32EEvPjS0_PcS1_S1_S0_S0_PdP6loc_htS0_P11loc_ht_boolijS0_llliijS1_S1_S0_i,"axG",@progbits,_Z22iterative_walks_kernelILi32EEvPjS0_PcS1_S1_S0_S0_PdP6loc_htS0_P11loc_ht_boolijS0_llliijS1_S1_S0_i,comdat
.Lfunc_end1:
	.size	_Z22iterative_walks_kernelILi32EEvPjS0_PcS1_S1_S0_S0_PdP6loc_htS0_P11loc_ht_boolijS0_llliijS1_S1_S0_i, .Lfunc_end1-_Z22iterative_walks_kernelILi32EEvPjS0_PcS1_S1_S0_S0_PdP6loc_htS0_P11loc_ht_boolijS0_llliijS1_S1_S0_i
                                        ; -- End function
	.section	.AMDGPU.csdata,"",@progbits
; Kernel info:
; codeLenInByte = 22524
; NumSgprs: 64
; NumVgprs: 105
; ScratchSize: 96
; MemoryBound: 0
; FloatMode: 240
; IeeeMode: 1
; LDSByteSize: 0 bytes/workgroup (compile time only)
; SGPRBlocks: 7
; VGPRBlocks: 13
; NumSGPRsForWavesPerEU: 64
; NumVGPRsForWavesPerEU: 105
; Occupancy: 12
; WaveLimiterHint : 1
; COMPUTE_PGM_RSRC2:SCRATCH_EN: 1
; COMPUTE_PGM_RSRC2:USER_SGPR: 15
; COMPUTE_PGM_RSRC2:TRAP_HANDLER: 0
; COMPUTE_PGM_RSRC2:TGID_X_EN: 1
; COMPUTE_PGM_RSRC2:TGID_Y_EN: 0
; COMPUTE_PGM_RSRC2:TGID_Z_EN: 0
; COMPUTE_PGM_RSRC2:TIDIG_COMP_CNT: 0
	.section	.text._Z22iterative_walks_kernelILi64EEvPjS0_PcS1_S1_S0_S0_PdP6loc_htS0_P11loc_ht_boolijS0_llliijS1_S1_S0_i,"axG",@progbits,_Z22iterative_walks_kernelILi64EEvPjS0_PcS1_S1_S0_S0_PdP6loc_htS0_P11loc_ht_boolijS0_llliijS1_S1_S0_i,comdat
	.protected	_Z22iterative_walks_kernelILi64EEvPjS0_PcS1_S1_S0_S0_PdP6loc_htS0_P11loc_ht_boolijS0_llliijS1_S1_S0_i ; -- Begin function _Z22iterative_walks_kernelILi64EEvPjS0_PcS1_S1_S0_S0_PdP6loc_htS0_P11loc_ht_boolijS0_llliijS1_S1_S0_i
	.globl	_Z22iterative_walks_kernelILi64EEvPjS0_PcS1_S1_S0_S0_PdP6loc_htS0_P11loc_ht_boolijS0_llliijS1_S1_S0_i
	.p2align	8
	.type	_Z22iterative_walks_kernelILi64EEvPjS0_PcS1_S1_S0_S0_PdP6loc_htS0_P11loc_ht_boolijS0_llliijS1_S1_S0_i,@function
_Z22iterative_walks_kernelILi64EEvPjS0_PcS1_S1_S0_S0_PdP6loc_htS0_P11loc_ht_boolijS0_llliijS1_S1_S0_i: ; @_Z22iterative_walks_kernelILi64EEvPjS0_PcS1_S1_S0_S0_PdP6loc_htS0_P11loc_ht_boolijS0_llliijS1_S1_S0_i
; %bb.0:
	s_mov_b64 s[26:27], s[0:1]
	s_load_b32 s0, s[0:1], 0xbc
	s_load_b32 s1, s[26:27], 0xa8
	s_add_u32 s52, s26, 0xb0
	s_addc_u32 s53, s27, 0
	s_movk_i32 s32, 0x60
	s_waitcnt lgkmcnt(0)
	s_and_b32 s0, s0, 0xffff
	s_delay_alu instid0(SALU_CYCLE_1) | instskip(SKIP_1) | instid1(VALU_DEP_1)
	v_mad_u64_u32 v[1:2], null, s15, s0, v[0:1]
	s_mov_b32 s0, exec_lo
	v_lshrrev_b32_e32 v7, 6, v1
	s_delay_alu instid0(VALU_DEP_1)
	v_cmpx_gt_i32_e64 s1, v7
	s_cbranch_execz .LBB2_710
; %bb.1:
	s_clause 0x4
	s_load_b512 s[36:51], s[26:27], 0x8
	s_load_b128 s[4:7], s[26:27], 0x48
	s_load_b64 s[2:3], s[26:27], 0x58
	s_load_b64 s[54:55], s[26:27], 0x70
	s_load_b128 s[8:11], s[26:27], 0x90
	v_cmp_lt_u32_e64 s28, 63, v1
	v_lshlrev_b32_e32 v80, 2, v7
                                        ; implicit-def: $vgpr46_vgpr47
                                        ; implicit-def: $vgpr60_vgpr61
                                        ; implicit-def: $vgpr64_vgpr65
                                        ; implicit-def: $vgpr68_vgpr69
                                        ; implicit-def: $vgpr62_vgpr63
                                        ; implicit-def: $vgpr45
                                        ; implicit-def: $vgpr43_vgpr44
                                        ; implicit-def: $vgpr81
                                        ; implicit-def: $vgpr66_vgpr67
                                        ; implicit-def: $vgpr82
                                        ; implicit-def: $vgpr1_vgpr2
	s_delay_alu instid0(VALU_DEP_2) | instskip(NEXT) | instid1(SALU_CYCLE_1)
	s_and_saveexec_b32 s0, s28
	s_xor_b32 s1, exec_lo, s0
	s_cbranch_execz .LBB2_7
; %bb.2:
	s_waitcnt lgkmcnt(0)
	global_load_b64 v[3:4], v80, s[46:47] offset:-4
	v_lshlrev_b32_e32 v1, 3, v7
	v_dual_mov_b32 v47, s41 :: v_dual_mov_b32 v46, s40
	global_load_b64 v[5:6], v80, s[36:37] offset:-4
	global_load_b64 v[1:2], v1, s[48:49]
	s_waitcnt vmcnt(2)
	v_cmp_ne_u32_e32 vcc_lo, 0, v3
	s_and_saveexec_b32 s12, vcc_lo
	s_cbranch_execz .LBB2_4
; %bb.3:
	v_dual_mov_b32 v9, 0 :: v_dual_add_nc_u32 v8, -1, v3
	s_delay_alu instid0(VALU_DEP_1) | instskip(NEXT) | instid1(VALU_DEP_1)
	v_lshlrev_b64 v[8:9], 2, v[8:9]
	v_add_co_u32 v8, s0, s44, v8
	s_delay_alu instid0(VALU_DEP_1) | instskip(SKIP_3) | instid1(VALU_DEP_1)
	v_add_co_ci_u32_e64 v9, s0, s45, v9, s0
	global_load_b32 v8, v[8:9], off
	s_waitcnt vmcnt(0)
	v_add_co_u32 v46, s0, s40, v8
	v_add_co_ci_u32_e64 v47, null, s41, 0, s0
.LBB2_4:
	s_or_b32 exec_lo, exec_lo, s12
	v_dual_mov_b32 v61, s43 :: v_dual_mov_b32 v60, s42
	s_and_saveexec_b32 s0, vcc_lo
	s_cbranch_execz .LBB2_6
; %bb.5:
	v_dual_mov_b32 v9, 0 :: v_dual_add_nc_u32 v8, -1, v3
	s_delay_alu instid0(VALU_DEP_1) | instskip(NEXT) | instid1(VALU_DEP_1)
	v_lshlrev_b64 v[8:9], 2, v[8:9]
	v_add_co_u32 v8, vcc_lo, s44, v8
	s_delay_alu instid0(VALU_DEP_2) | instskip(SKIP_3) | instid1(VALU_DEP_1)
	v_add_co_ci_u32_e32 v9, vcc_lo, s45, v9, vcc_lo
	global_load_b32 v8, v[8:9], off
	s_waitcnt vmcnt(0)
	v_add_co_u32 v60, s12, s42, v8
	v_add_co_ci_u32_e64 v61, null, s43, 0, s12
.LBB2_6:
	s_or_b32 exec_lo, exec_lo, s0
	global_load_b64 v[8:9], v80, s[4:5] offset:-4
	v_mad_u64_u32 v[10:11], null, v7, s54, 0
	s_add_u32 s0, s3, s54
	s_waitcnt vmcnt(2)
	v_sub_nc_u32_e32 v81, v6, v5
	v_mad_u64_u32 v[64:65], null, s0, v7, s[10:11]
	v_add_co_u32 v66, s0, s38, v5
	s_delay_alu instid0(VALU_DEP_4) | instskip(SKIP_4) | instid1(VALU_DEP_4)
	v_mad_u64_u32 v[62:63], null, v10, 24, s[6:7]
	v_mad_u64_u32 v[12:13], null, v7, s55, v[11:12]
	v_add_co_ci_u32_e64 v67, null, s39, 0, s0
	s_addc_u32 s0, 0, s55
	v_add_co_u32 v68, vcc_lo, s8, v10
	v_mov_b32_e32 v11, v63
	s_delay_alu instid0(VALU_DEP_4) | instskip(SKIP_1) | instid1(VALU_DEP_3)
	v_add_co_ci_u32_e32 v69, vcc_lo, s9, v12, vcc_lo
	v_sub_nc_u32_e32 v82, v4, v3
	v_mad_u64_u32 v[13:14], null, v12, 24, v[11:12]
	v_mov_b32_e32 v11, v65
	s_delay_alu instid0(VALU_DEP_1) | instskip(NEXT) | instid1(VALU_DEP_3)
	v_mad_u64_u32 v[5:6], null, s0, v7, v[11:12]
	v_mov_b32_e32 v63, v13
	s_delay_alu instid0(VALU_DEP_2)
	v_mov_b32_e32 v65, v5
	s_waitcnt vmcnt(0)
	v_mad_u64_u32 v[43:44], null, v8, 56, s[50:51]
	v_sub_nc_u32_e32 v45, v9, v8
.LBB2_7:
	s_or_saveexec_b32 s0, s1
	s_load_b64 s[56:57], s[26:27], 0xa0
	s_xor_b32 exec_lo, exec_lo, s0
	s_cbranch_execz .LBB2_9
; %bb.8:
	s_waitcnt lgkmcnt(0)
	s_load_b64 s[12:13], s[48:49], 0x0
	s_load_b32 s1, s[46:47], 0x0
	s_load_b32 s3, s[36:37], 0x0
	;; [unrolled: 1-line block ×3, first 2 shown]
	v_mov_b32_e32 v47, s41
	v_dual_mov_b32 v67, s39 :: v_dual_mov_b32 v66, s38
	v_dual_mov_b32 v43, s50 :: v_dual_mov_b32 v44, s51
	;; [unrolled: 1-line block ×6, first 2 shown]
	s_waitcnt lgkmcnt(0)
	v_dual_mov_b32 v46, s40 :: v_dual_mov_b32 v1, s12
	v_mov_b32_e32 v2, s13
	v_dual_mov_b32 v82, s1 :: v_dual_mov_b32 v81, s3
	v_mov_b32_e32 v45, s4
.LBB2_9:
	s_or_b32 exec_lo, exec_lo, s0
	s_delay_alu instid0(VALU_DEP_2)
	v_min_i32_e32 v83, 0x79, v81
	s_waitcnt lgkmcnt(0)
	s_cmp_gt_i32 s2, 20
	v_and_b32_e32 v70, 63, v0
	v_mov_b32_e32 v96, 0
	s_cselect_b32 s0, -1, 0
	v_cmp_le_i32_e32 vcc_lo, s2, v83
	s_and_b32 s0, s0, vcc_lo
	s_delay_alu instid0(SALU_CYCLE_1)
	s_and_saveexec_b32 s40, s0
	s_cbranch_execz .LBB2_708
; %bb.10:
	v_cvt_i32_f64_e32 v0, v[1:2]
	s_mov_b32 s0, 0x9999999a
	s_mov_b32 s4, 0x33333333
	;; [unrolled: 1-line block ×4, first 2 shown]
	v_cvt_f32_u32_e32 v4, s54
	v_cvt_f32_u32_e32 v5, v45
	v_sub_nc_u32_e32 v6, 0, v45
	s_load_b32 s42, s[26:27], 0x88
	v_dual_mov_b32 v55, 1 :: v_dual_mov_b32 v54, 2
	v_rcp_iflag_f32_e32 v4, v4
	v_rcp_iflag_f32_e32 v5, v5
	v_cmp_lt_u32_e64 s29, v70, v45
	v_cmp_ne_u32_e64 s33, 0, v82
	v_add_nc_u32_e64 v84, 16, 16
	v_add_nc_u32_e64 v85, 16, 32
	;; [unrolled: 1-line block ×3, first 2 shown]
	v_cmp_eq_u32_e64 s35, 0, v70
	v_or_b32_e32 v89, 64, v70
	v_mbcnt_lo_u32_b32 v91, -1, 0
	s_delay_alu instid0(TRANS32_DEP_1) | instskip(SKIP_2) | instid1(VALU_DEP_3)
	v_dual_mul_f32 v4, 0x4f7ffffe, v4 :: v_dual_mul_f32 v5, 0x4f7ffffe, v5
	v_dual_mov_b32 v56, 33 :: v_dual_mov_b32 v93, 0x43
	v_dual_mov_b32 v92, 0x41 :: v_dual_mov_b32 v97, v55
	v_cvt_u32_f32_e32 v5, v5
	s_delay_alu instid0(VALU_DEP_4)
	v_cvt_u32_f32_e32 v4, v4
	v_mov_b32_e32 v94, 0x47
	s_mov_b32 s36, 0
	s_mov_b32 s49, 0
	v_mul_lo_u32 v6, v6, v5
	v_mov_b32_e32 v42, s2
	v_mov_b32_e32 v90, -1
	v_cvt_f64_i32_e32 v[0:1], v0
	s_delay_alu instid0(VALU_DEP_1) | instskip(SKIP_4) | instid1(SALU_CYCLE_1)
	v_mul_f64 v[2:3], v[0:1], s[0:1]
	v_mul_f64 v[0:1], v[0:1], s[4:5]
	s_getpc_b64 s[0:1]
	s_add_u32 s0, s0, .str.3@rel32@lo+4
	s_addc_u32 s1, s1, .str.3@rel32@hi+12
	s_cmp_lg_u64 s[0:1], 0
	s_cselect_b32 s41, -1, 0
	s_getpc_b64 s[0:1]
	s_add_u32 s0, s0, .str.4@rel32@lo+4
	s_addc_u32 s1, s1, .str.4@rel32@hi+12
	s_delay_alu instid0(SALU_CYCLE_1) | instskip(SKIP_4) | instid1(SALU_CYCLE_1)
	s_cmp_lg_u64 s[0:1], 0
	s_cselect_b32 s43, -1, 0
	s_cmp_gt_i32 s54, 0
	s_cselect_b32 s48, -1, 0
	s_sub_i32 s0, 0, s54
	v_mul_lo_u32 v7, s0, v4
	v_add_co_u32 v76, s0, s46, v80
	s_delay_alu instid0(VALU_DEP_1)
	v_add_co_ci_u32_e64 v77, null, s47, 0, s0
	v_max_f64 v[72:73], v[2:3], 2.0
	v_max_f64 v[74:75], v[0:1], 2.0
	v_mul_hi_u32 v3, v5, v6
	v_mov_b32_e32 v53, 0
	v_mad_u64_u32 v[0:1], null, v70, 56, v[43:44]
	v_mul_hi_u32 v2, v4, v7
	s_delay_alu instid0(VALU_DEP_4) | instskip(NEXT) | instid1(VALU_DEP_4)
	v_add_nc_u32_e32 v88, v5, v3
	v_mov_b32_e32 v71, v53
	s_delay_alu instid0(VALU_DEP_4) | instskip(NEXT) | instid1(VALU_DEP_4)
	v_add_co_u32 v78, vcc_lo, v0, 8
	v_add_nc_u32_e32 v87, v4, v2
	v_add_co_ci_u32_e32 v79, vcc_lo, 0, v1, vcc_lo
	s_delay_alu instid0(VALU_DEP_4)
	v_cmp_gt_i64_e64 s34, s[54:55], v[70:71]
	v_dual_mov_b32 v95, 0x54 :: v_dual_mov_b32 v98, v53
	v_mov_b32_e32 v96, v53
	s_branch .LBB2_13
.LBB2_11:                               ;   in Loop: Header=BB2_13 Depth=1
	s_or_b32 exec_lo, exec_lo, s2
	s_delay_alu instid0(SALU_CYCLE_1)
	s_or_not1_b32 s4, s0, exec_lo
.LBB2_12:                               ;   in Loop: Header=BB2_13 Depth=1
	s_or_b32 exec_lo, exec_lo, s1
	s_delay_alu instid0(SALU_CYCLE_1) | instskip(NEXT) | instid1(SALU_CYCLE_1)
	s_and_b32 s0, exec_lo, s4
	s_or_b32 s49, s0, s49
	s_delay_alu instid0(SALU_CYCLE_1)
	s_and_not1_b32 exec_lo, exec_lo, s49
	s_cbranch_execz .LBB2_707
.LBB2_13:                               ; =>This Loop Header: Depth=1
                                        ;     Child Loop BB2_15 Depth 2
                                        ;     Child Loop BB2_20 Depth 2
                                        ;       Child Loop BB2_34 Depth 3
                                        ;         Child Loop BB2_38 Depth 4
                                        ;         Child Loop BB2_46 Depth 4
	;; [unrolled: 1-line block ×9, first 2 shown]
                                        ;           Child Loop BB2_67 Depth 5
                                        ;           Child Loop BB2_74 Depth 5
                                        ;           Child Loop BB2_81 Depth 5
                                        ;           Child Loop BB2_88 Depth 5
                                        ;           Child Loop BB2_95 Depth 5
                                        ;           Child Loop BB2_102 Depth 5
                                        ;           Child Loop BB2_109 Depth 5
                                        ;           Child Loop BB2_116 Depth 5
                                        ;           Child Loop BB2_124 Depth 5
                                        ;           Child Loop BB2_133 Depth 5
                                        ;           Child Loop BB2_138 Depth 5
                                        ;     Child Loop BB2_214 Depth 2
                                        ;       Child Loop BB2_323 Depth 3
                                        ;       Child Loop BB2_331 Depth 3
	;; [unrolled: 1-line block ×9, first 2 shown]
                                        ;         Child Loop BB2_424 Depth 4
                                        ;         Child Loop BB2_431 Depth 4
	;; [unrolled: 1-line block ×11, first 2 shown]
                                        ;     Child Loop BB2_560 Depth 2
                                        ;     Child Loop BB2_563 Depth 2
	;; [unrolled: 1-line block ×3, first 2 shown]
                                        ;       Child Loop BB2_575 Depth 3
                                        ;       Child Loop BB2_594 Depth 3
	;; [unrolled: 1-line block ×3, first 2 shown]
                                        ;         Child Loop BB2_605 Depth 4
                                        ;       Child Loop BB2_619 Depth 3
                                        ;       Child Loop BB2_638 Depth 3
	;; [unrolled: 1-line block ×3, first 2 shown]
                                        ;         Child Loop BB2_649 Depth 4
                                        ;     Child Loop BB2_693 Depth 2
	s_and_saveexec_b32 s1, s29
	s_cbranch_execz .LBB2_16
; %bb.14:                               ;   in Loop: Header=BB2_13 Depth=1
	v_dual_mov_b32 v0, v78 :: v_dual_mov_b32 v1, v79
	v_mov_b32_e32 v2, v70
	s_mov_b32 s2, 0
.LBB2_15:                               ;   Parent Loop BB2_13 Depth=1
                                        ; =>  This Inner Loop Header: Depth=2
	s_delay_alu instid0(VALU_DEP_1) | instskip(SKIP_2) | instid1(VALU_DEP_1)
	v_add_nc_u32_e32 v2, 64, v2
	global_store_b32 v[0:1], v90, off
	v_add_co_u32 v0, s0, 0xe00, v0
	v_add_co_ci_u32_e64 v1, s0, 0, v1, s0
	v_cmp_ge_u32_e32 vcc_lo, v2, v45
	s_or_b32 s2, vcc_lo, s2
	s_delay_alu instid0(SALU_CYCLE_1)
	s_and_not1_b32 exec_lo, exec_lo, s2
	s_cbranch_execnz .LBB2_15
.LBB2_16:                               ;   in Loop: Header=BB2_13 Depth=1
	s_or_b32 exec_lo, exec_lo, s1
	s_and_saveexec_b32 s50, s33
	s_cbranch_execz .LBB2_210
; %bb.17:                               ;   in Loop: Header=BB2_13 Depth=1
	v_mov_b32_e32 v40, 0
	s_mov_b32 s51, 0
	s_mov_b32 s58, 0
	s_branch .LBB2_20
.LBB2_18:                               ;   in Loop: Header=BB2_20 Depth=2
	s_or_b32 exec_lo, exec_lo, s60
	v_add_nc_u32_e32 v40, v41, v40
.LBB2_19:                               ;   in Loop: Header=BB2_20 Depth=2
	s_or_b32 exec_lo, exec_lo, s59
	s_add_i32 s58, s58, 1
	s_delay_alu instid0(SALU_CYCLE_1) | instskip(SKIP_1) | instid1(SALU_CYCLE_1)
	v_cmp_eq_u32_e32 vcc_lo, s58, v82
	s_or_b32 s51, vcc_lo, s51
	s_and_not1_b32 exec_lo, exec_lo, s51
	s_cbranch_execz .LBB2_210
.LBB2_20:                               ;   Parent Loop BB2_13 Depth=1
                                        ; =>  This Loop Header: Depth=2
                                        ;       Child Loop BB2_34 Depth 3
                                        ;         Child Loop BB2_38 Depth 4
                                        ;         Child Loop BB2_46 Depth 4
	;; [unrolled: 1-line block ×9, first 2 shown]
                                        ;           Child Loop BB2_67 Depth 5
                                        ;           Child Loop BB2_74 Depth 5
	;; [unrolled: 1-line block ×11, first 2 shown]
	s_cmp_lg_u32 s58, 0
	s_cbranch_scc0 .LBB2_23
; %bb.21:                               ;   in Loop: Header=BB2_20 Depth=2
	global_load_b32 v0, v[76:77], off
	s_waitcnt vmcnt(0)
	v_sub_nc_u32_e32 v0, v0, v82
	s_delay_alu instid0(VALU_DEP_1) | instskip(NEXT) | instid1(VALU_DEP_1)
	v_add_nc_u32_e32 v52, s58, v0
	v_lshlrev_b64 v[0:1], 2, v[52:53]
	v_add_nc_u32_e32 v52, -1, v52
	s_delay_alu instid0(VALU_DEP_1) | instskip(NEXT) | instid1(VALU_DEP_3)
	v_lshlrev_b64 v[2:3], 2, v[52:53]
	v_add_co_u32 v0, vcc_lo, s44, v0
	s_delay_alu instid0(VALU_DEP_4) | instskip(NEXT) | instid1(VALU_DEP_3)
	v_add_co_ci_u32_e32 v1, vcc_lo, s45, v1, vcc_lo
	v_add_co_u32 v2, vcc_lo, s44, v2
	s_delay_alu instid0(VALU_DEP_4)
	v_add_co_ci_u32_e32 v3, vcc_lo, s45, v3, vcc_lo
	s_clause 0x1
	global_load_b32 v0, v[0:1], off
	global_load_b32 v1, v[2:3], off
	s_waitcnt vmcnt(0)
	v_sub_nc_u32_e32 v41, v0, v1
	s_cbranch_execz .LBB2_24
; %bb.22:                               ;   in Loop: Header=BB2_20 Depth=2
	s_mov_b32 s59, exec_lo
	s_delay_alu instid0(VALU_DEP_1)
	v_cmpx_ge_i32_e64 v41, v42
	s_cbranch_execz .LBB2_19
	s_branch .LBB2_31
.LBB2_23:                               ;   in Loop: Header=BB2_20 Depth=2
                                        ; implicit-def: $vgpr41
.LBB2_24:                               ;   in Loop: Header=BB2_20 Depth=2
                                        ; implicit-def: $vgpr41
	s_and_saveexec_b32 s0, s28
	s_delay_alu instid0(SALU_CYCLE_1)
	s_xor_b32 s0, exec_lo, s0
	s_cbranch_execz .LBB2_28
; %bb.25:                               ;   in Loop: Header=BB2_20 Depth=2
	global_load_b64 v[0:1], v[76:77], off offset:-4
	s_mov_b32 s1, exec_lo
	s_waitcnt vmcnt(0)
	v_sub_nc_u32_e32 v52, v1, v82
	s_delay_alu instid0(VALU_DEP_1) | instskip(NEXT) | instid1(VALU_DEP_1)
	v_lshlrev_b64 v[1:2], 2, v[52:53]
	v_add_co_u32 v1, vcc_lo, s44, v1
	s_delay_alu instid0(VALU_DEP_2)
	v_add_co_ci_u32_e32 v2, vcc_lo, s45, v2, vcc_lo
	global_load_b32 v41, v[1:2], off
	v_cmpx_ne_u32_e32 0, v0
	s_cbranch_execz .LBB2_27
; %bb.26:                               ;   in Loop: Header=BB2_20 Depth=2
	v_add_nc_u32_e32 v52, -1, v0
	s_delay_alu instid0(VALU_DEP_1) | instskip(NEXT) | instid1(VALU_DEP_1)
	v_lshlrev_b64 v[0:1], 2, v[52:53]
	v_add_co_u32 v0, vcc_lo, s44, v0
	s_delay_alu instid0(VALU_DEP_2)
	v_add_co_ci_u32_e32 v1, vcc_lo, s45, v1, vcc_lo
	global_load_b32 v0, v[0:1], off
	s_waitcnt vmcnt(0)
	v_sub_nc_u32_e32 v41, v41, v0
.LBB2_27:                               ;   in Loop: Header=BB2_20 Depth=2
	s_or_b32 exec_lo, exec_lo, s1
.LBB2_28:                               ;   in Loop: Header=BB2_20 Depth=2
	s_and_not1_saveexec_b32 s0, s0
	s_cbranch_execz .LBB2_30
; %bb.29:                               ;   in Loop: Header=BB2_20 Depth=2
	global_load_b32 v0, v53, s[46:47]
	s_waitcnt vmcnt(0)
	v_sub_nc_u32_e32 v52, v0, v82
	s_delay_alu instid0(VALU_DEP_1) | instskip(NEXT) | instid1(VALU_DEP_1)
	v_lshlrev_b64 v[0:1], 2, v[52:53]
	v_add_co_u32 v0, vcc_lo, s44, v0
	s_delay_alu instid0(VALU_DEP_2)
	v_add_co_ci_u32_e32 v1, vcc_lo, s45, v1, vcc_lo
	global_load_b32 v41, v[0:1], off
.LBB2_30:                               ;   in Loop: Header=BB2_20 Depth=2
	s_or_b32 exec_lo, exec_lo, s0
	s_delay_alu instid0(SALU_CYCLE_1)
	s_mov_b32 s59, exec_lo
	s_waitcnt vmcnt(0)
	v_cmpx_ge_i32_e64 v41, v42
	s_cbranch_execz .LBB2_19
.LBB2_31:                               ;   in Loop: Header=BB2_20 Depth=2
	v_sub_nc_u32_e32 v99, v41, v42
	s_mov_b32 s60, exec_lo
	s_delay_alu instid0(VALU_DEP_1)
	v_cmpx_lt_i32_e64 v70, v99
	s_cbranch_execz .LBB2_18
; %bb.32:                               ;   in Loop: Header=BB2_20 Depth=2
	v_add_co_u32 v100, vcc_lo, v46, v40
	v_add_co_ci_u32_e32 v101, vcc_lo, 0, v47, vcc_lo
	v_add_co_u32 v102, vcc_lo, v60, v40
	v_add_co_ci_u32_e32 v103, vcc_lo, 0, v61, vcc_lo
	v_mov_b32_e32 v104, v70
	s_mov_b32 s61, 0
	s_branch .LBB2_34
.LBB2_33:                               ;   in Loop: Header=BB2_34 Depth=3
	s_or_b32 exec_lo, exec_lo, s1
	v_add_nc_u32_e32 v104, 64, v104
	s_delay_alu instid0(VALU_DEP_1) | instskip(SKIP_1) | instid1(SALU_CYCLE_1)
	v_cmp_ge_i32_e32 vcc_lo, v104, v99
	s_or_b32 s61, vcc_lo, s61
	s_and_not1_b32 exec_lo, exec_lo, s61
	s_cbranch_execz .LBB2_18
.LBB2_34:                               ;   Parent Loop BB2_13 Depth=1
                                        ;     Parent Loop BB2_20 Depth=2
                                        ; =>    This Loop Header: Depth=3
                                        ;         Child Loop BB2_38 Depth 4
                                        ;         Child Loop BB2_46 Depth 4
	;; [unrolled: 1-line block ×9, first 2 shown]
                                        ;           Child Loop BB2_67 Depth 5
                                        ;           Child Loop BB2_74 Depth 5
	;; [unrolled: 1-line block ×11, first 2 shown]
	s_delay_alu instid0(VALU_DEP_1)
	v_add_co_u32 v2, vcc_lo, v100, v104
	v_add_co_ci_u32_e32 v3, vcc_lo, 0, v101, vcc_lo
	v_dual_mov_b32 v0, v43 :: v_dual_mov_b32 v1, v44
	v_dual_mov_b32 v4, v42 :: v_dual_mov_b32 v5, v45
	s_add_u32 s8, s26, 0xb0
	s_addc_u32 s9, s27, 0
	s_getpc_b64 s[0:1]
	s_add_u32 s0, s0, _Z13ht_get_atomicP6loc_ht9cstr_typej@rel32@lo+4
	s_addc_u32 s1, s1, _Z13ht_get_atomicP6loc_ht9cstr_typej@rel32@hi+12
	s_delay_alu instid0(SALU_CYCLE_1) | instskip(SKIP_2) | instid1(VALU_DEP_1)
	s_swappc_b64 s[30:31], s[0:1]
	v_add_nc_u32_e32 v26, v104, v42
	s_mov_b32 s14, exec_lo
	v_cmpx_ge_i32_e64 v26, v41
	s_cbranch_execz .LBB2_167
; %bb.35:                               ;   in Loop: Header=BB2_34 Depth=3
	s_load_b64 s[2:3], s[52:53], 0x50
	v_readfirstlane_b32 s0, v91
	v_mov_b32_e32 v6, 0
	v_mov_b32_e32 v7, 0
	s_delay_alu instid0(VALU_DEP_3) | instskip(NEXT) | instid1(VALU_DEP_1)
	v_cmp_eq_u32_e64 s0, s0, v91
	s_and_saveexec_b32 s1, s0
	s_cbranch_execz .LBB2_41
; %bb.36:                               ;   in Loop: Header=BB2_34 Depth=3
	s_waitcnt lgkmcnt(0)
	global_load_b64 v[4:5], v53, s[2:3] offset:24 glc
	s_waitcnt vmcnt(0)
	buffer_gl1_inv
	buffer_gl0_inv
	s_clause 0x1
	global_load_b64 v[2:3], v53, s[2:3] offset:40
	global_load_b64 v[6:7], v53, s[2:3]
	s_mov_b32 s4, exec_lo
	s_waitcnt vmcnt(1)
	v_and_b32_e32 v3, v3, v5
	v_and_b32_e32 v2, v2, v4
	s_delay_alu instid0(VALU_DEP_2) | instskip(NEXT) | instid1(VALU_DEP_2)
	v_mul_lo_u32 v3, v3, 24
	v_mul_hi_u32 v8, v2, 24
	v_mul_lo_u32 v2, v2, 24
	s_delay_alu instid0(VALU_DEP_2) | instskip(SKIP_1) | instid1(VALU_DEP_2)
	v_add_nc_u32_e32 v3, v8, v3
	s_waitcnt vmcnt(0)
	v_add_co_u32 v2, vcc_lo, v6, v2
	s_delay_alu instid0(VALU_DEP_2)
	v_add_co_ci_u32_e32 v3, vcc_lo, v7, v3, vcc_lo
	global_load_b64 v[2:3], v[2:3], off glc
	s_waitcnt vmcnt(0)
	global_atomic_cmpswap_b64 v[6:7], v53, v[2:5], s[2:3] offset:24 glc
	s_waitcnt vmcnt(0)
	buffer_gl1_inv
	buffer_gl0_inv
	v_cmpx_ne_u64_e64 v[6:7], v[4:5]
	s_cbranch_execz .LBB2_40
; %bb.37:                               ;   in Loop: Header=BB2_34 Depth=3
	s_mov_b32 s5, 0
	.p2align	6
.LBB2_38:                               ;   Parent Loop BB2_13 Depth=1
                                        ;     Parent Loop BB2_20 Depth=2
                                        ;       Parent Loop BB2_34 Depth=3
                                        ; =>      This Inner Loop Header: Depth=4
	s_sleep 1
	s_clause 0x1
	global_load_b64 v[2:3], v53, s[2:3] offset:40
	global_load_b64 v[8:9], v53, s[2:3]
	v_dual_mov_b32 v4, v6 :: v_dual_mov_b32 v5, v7
	s_waitcnt vmcnt(1)
	s_delay_alu instid0(VALU_DEP_1) | instskip(NEXT) | instid1(VALU_DEP_2)
	v_and_b32_e32 v2, v2, v4
	v_and_b32_e32 v3, v3, v5
	s_waitcnt vmcnt(0)
	s_delay_alu instid0(VALU_DEP_2) | instskip(NEXT) | instid1(VALU_DEP_1)
	v_mad_u64_u32 v[6:7], null, v2, 24, v[8:9]
	v_mov_b32_e32 v2, v7
	s_delay_alu instid0(VALU_DEP_1)
	v_mad_u64_u32 v[7:8], null, v3, 24, v[2:3]
	global_load_b64 v[2:3], v[6:7], off glc
	s_waitcnt vmcnt(0)
	global_atomic_cmpswap_b64 v[6:7], v53, v[2:5], s[2:3] offset:24 glc
	s_waitcnt vmcnt(0)
	buffer_gl1_inv
	buffer_gl0_inv
	v_cmp_eq_u64_e32 vcc_lo, v[6:7], v[4:5]
	s_or_b32 s5, vcc_lo, s5
	s_delay_alu instid0(SALU_CYCLE_1)
	s_and_not1_b32 exec_lo, exec_lo, s5
	s_cbranch_execnz .LBB2_38
; %bb.39:                               ;   in Loop: Header=BB2_34 Depth=3
	s_or_b32 exec_lo, exec_lo, s5
.LBB2_40:                               ;   in Loop: Header=BB2_34 Depth=3
	s_delay_alu instid0(SALU_CYCLE_1)
	s_or_b32 exec_lo, exec_lo, s4
.LBB2_41:                               ;   in Loop: Header=BB2_34 Depth=3
	s_delay_alu instid0(SALU_CYCLE_1)
	s_or_b32 exec_lo, exec_lo, s1
	s_waitcnt lgkmcnt(0)
	s_clause 0x1
	global_load_b64 v[8:9], v53, s[2:3] offset:40
	global_load_b128 v[2:5], v53, s[2:3]
	v_readfirstlane_b32 s4, v6
	v_readfirstlane_b32 s5, v7
	s_mov_b32 s1, exec_lo
	s_waitcnt vmcnt(1)
	v_readfirstlane_b32 s6, v8
	v_readfirstlane_b32 s7, v9
	s_delay_alu instid0(VALU_DEP_1) | instskip(NEXT) | instid1(SALU_CYCLE_1)
	s_and_b64 s[6:7], s[4:5], s[6:7]
	s_mul_i32 s8, s7, 24
	s_mul_hi_u32 s9, s6, 24
	s_mul_i32 s10, s6, 24
	s_add_i32 s9, s9, s8
	s_waitcnt vmcnt(0)
	v_add_co_u32 v6, vcc_lo, v2, s10
	v_add_co_ci_u32_e32 v7, vcc_lo, s9, v3, vcc_lo
	s_and_saveexec_b32 s8, s0
	s_cbranch_execz .LBB2_43
; %bb.42:                               ;   in Loop: Header=BB2_34 Depth=3
	v_mov_b32_e32 v52, s1
	global_store_b128 v[6:7], v[52:55], off offset:8
.LBB2_43:                               ;   in Loop: Header=BB2_34 Depth=3
	s_or_b32 exec_lo, exec_lo, s8
	s_lshl_b64 s[6:7], s[6:7], 12
	s_mov_b32 s37, s36
	v_add_co_u32 v10, vcc_lo, v4, s6
	v_add_co_ci_u32_e32 v11, vcc_lo, s7, v5, vcc_lo
	s_mov_b32 s38, s36
	s_mov_b32 s39, s36
	v_dual_mov_b32 v58, v53 :: v_dual_lshlrev_b32 v27, 6, v91
	v_dual_mov_b32 v57, v53 :: v_dual_mov_b32 v12, s36
	v_dual_mov_b32 v59, v53 :: v_dual_mov_b32 v14, s38
	v_readfirstlane_b32 s6, v10
	v_readfirstlane_b32 s7, v11
	v_mov_b32_e32 v13, s37
	v_mov_b32_e32 v15, s39
	s_clause 0x3
	global_store_b128 v27, v[56:59], s[6:7]
	global_store_b128 v27, v[12:15], s[6:7] offset:16
	global_store_b128 v27, v[12:15], s[6:7] offset:32
	;; [unrolled: 1-line block ×3, first 2 shown]
	s_and_saveexec_b32 s1, s0
	s_cbranch_execz .LBB2_51
; %bb.44:                               ;   in Loop: Header=BB2_34 Depth=3
	s_clause 0x1
	global_load_b64 v[14:15], v53, s[2:3] offset:32 glc
	global_load_b64 v[4:5], v53, s[2:3] offset:40
	s_mov_b32 s6, exec_lo
	v_dual_mov_b32 v12, s4 :: v_dual_mov_b32 v13, s5
	s_waitcnt vmcnt(0)
	v_and_b32_e32 v5, s5, v5
	v_and_b32_e32 v4, s4, v4
	s_delay_alu instid0(VALU_DEP_2) | instskip(NEXT) | instid1(VALU_DEP_2)
	v_mul_lo_u32 v5, v5, 24
	v_mul_hi_u32 v8, v4, 24
	v_mul_lo_u32 v4, v4, 24
	s_delay_alu instid0(VALU_DEP_2) | instskip(NEXT) | instid1(VALU_DEP_2)
	v_add_nc_u32_e32 v5, v8, v5
	v_add_co_u32 v8, vcc_lo, v2, v4
	s_delay_alu instid0(VALU_DEP_2)
	v_add_co_ci_u32_e32 v9, vcc_lo, v3, v5, vcc_lo
	global_store_b64 v[8:9], v[14:15], off
	s_waitcnt_vscnt null, 0x0
	global_atomic_cmpswap_b64 v[4:5], v53, v[12:15], s[2:3] offset:32 glc
	s_waitcnt vmcnt(0)
	v_cmpx_ne_u64_e64 v[4:5], v[14:15]
	s_cbranch_execz .LBB2_47
; %bb.45:                               ;   in Loop: Header=BB2_34 Depth=3
	s_mov_b32 s7, 0
.LBB2_46:                               ;   Parent Loop BB2_13 Depth=1
                                        ;     Parent Loop BB2_20 Depth=2
                                        ;       Parent Loop BB2_34 Depth=3
                                        ; =>      This Inner Loop Header: Depth=4
	v_dual_mov_b32 v2, s4 :: v_dual_mov_b32 v3, s5
	s_sleep 1
	global_store_b64 v[8:9], v[4:5], off
	s_waitcnt_vscnt null, 0x0
	global_atomic_cmpswap_b64 v[2:3], v53, v[2:5], s[2:3] offset:32 glc
	s_waitcnt vmcnt(0)
	v_cmp_eq_u64_e32 vcc_lo, v[2:3], v[4:5]
	v_dual_mov_b32 v5, v3 :: v_dual_mov_b32 v4, v2
	s_or_b32 s7, vcc_lo, s7
	s_delay_alu instid0(SALU_CYCLE_1)
	s_and_not1_b32 exec_lo, exec_lo, s7
	s_cbranch_execnz .LBB2_46
.LBB2_47:                               ;   in Loop: Header=BB2_34 Depth=3
	s_or_b32 exec_lo, exec_lo, s6
	global_load_b64 v[2:3], v53, s[2:3] offset:16
	s_mov_b32 s7, exec_lo
	s_mov_b32 s6, exec_lo
	v_mbcnt_lo_u32_b32 v4, s7, 0
	s_delay_alu instid0(VALU_DEP_1)
	v_cmpx_eq_u32_e32 0, v4
	s_cbranch_execz .LBB2_49
; %bb.48:                               ;   in Loop: Header=BB2_34 Depth=3
	s_bcnt1_i32_b32 s7, s7
	s_delay_alu instid0(SALU_CYCLE_1)
	v_mov_b32_e32 v52, s7
	s_waitcnt vmcnt(0)
	global_atomic_add_u64 v[2:3], v[52:53], off offset:8
.LBB2_49:                               ;   in Loop: Header=BB2_34 Depth=3
	s_or_b32 exec_lo, exec_lo, s6
	s_waitcnt vmcnt(0)
	global_load_b64 v[4:5], v[2:3], off offset:16
	s_waitcnt vmcnt(0)
	v_cmp_eq_u64_e32 vcc_lo, 0, v[4:5]
	s_cbranch_vccnz .LBB2_51
; %bb.50:                               ;   in Loop: Header=BB2_34 Depth=3
	global_load_b32 v52, v[2:3], off offset:24
	s_waitcnt vmcnt(0)
	v_and_b32_e32 v2, 0xffffff, v52
	s_waitcnt_vscnt null, 0x0
	global_store_b64 v[4:5], v[52:53], off
	v_readfirstlane_b32 m0, v2
	s_sendmsg sendmsg(MSG_INTERRUPT)
.LBB2_51:                               ;   in Loop: Header=BB2_34 Depth=3
	s_or_b32 exec_lo, exec_lo, s1
	v_add_co_u32 v2, vcc_lo, v10, v27
	v_add_co_ci_u32_e32 v3, vcc_lo, 0, v11, vcc_lo
	s_branch .LBB2_55
	.p2align	6
.LBB2_52:                               ;   in Loop: Header=BB2_55 Depth=4
	s_or_b32 exec_lo, exec_lo, s1
	s_delay_alu instid0(VALU_DEP_1) | instskip(NEXT) | instid1(VALU_DEP_1)
	v_readfirstlane_b32 s1, v4
	s_cmp_eq_u32 s1, 0
	s_cbranch_scc1 .LBB2_54
; %bb.53:                               ;   in Loop: Header=BB2_55 Depth=4
	s_sleep 1
	s_cbranch_execnz .LBB2_55
	s_branch .LBB2_57
	.p2align	6
.LBB2_54:                               ;   in Loop: Header=BB2_34 Depth=3
	s_branch .LBB2_57
.LBB2_55:                               ;   Parent Loop BB2_13 Depth=1
                                        ;     Parent Loop BB2_20 Depth=2
                                        ;       Parent Loop BB2_34 Depth=3
                                        ; =>      This Inner Loop Header: Depth=4
	v_mov_b32_e32 v4, 1
	s_and_saveexec_b32 s1, s0
	s_cbranch_execz .LBB2_52
; %bb.56:                               ;   in Loop: Header=BB2_55 Depth=4
	global_load_b32 v4, v[6:7], off offset:20 glc
	s_waitcnt vmcnt(0)
	buffer_gl1_inv
	buffer_gl0_inv
	v_and_b32_e32 v4, 1, v4
	s_branch .LBB2_52
.LBB2_57:                               ;   in Loop: Header=BB2_34 Depth=3
	global_load_b64 v[2:3], v[2:3], off
	s_and_saveexec_b32 s1, s0
	s_cbranch_execz .LBB2_61
; %bb.58:                               ;   in Loop: Header=BB2_34 Depth=3
	s_clause 0x2
	global_load_b64 v[6:7], v53, s[2:3] offset:40
	global_load_b64 v[10:11], v53, s[2:3] offset:24 glc
	global_load_b64 v[8:9], v53, s[2:3]
	s_waitcnt vmcnt(2)
	v_add_co_u32 v12, vcc_lo, v6, 1
	v_add_co_ci_u32_e32 v13, vcc_lo, 0, v7, vcc_lo
	s_delay_alu instid0(VALU_DEP_2) | instskip(NEXT) | instid1(VALU_DEP_2)
	v_add_co_u32 v4, vcc_lo, v12, s4
	v_add_co_ci_u32_e32 v5, vcc_lo, s5, v13, vcc_lo
	s_delay_alu instid0(VALU_DEP_1) | instskip(SKIP_1) | instid1(VALU_DEP_1)
	v_cmp_eq_u64_e32 vcc_lo, 0, v[4:5]
	v_dual_cndmask_b32 v5, v5, v13 :: v_dual_cndmask_b32 v4, v4, v12
	v_and_b32_e32 v7, v5, v7
	s_delay_alu instid0(VALU_DEP_2) | instskip(NEXT) | instid1(VALU_DEP_1)
	v_and_b32_e32 v6, v4, v6
	v_mul_hi_u32 v12, v6, 24
	v_mul_lo_u32 v6, v6, 24
	s_waitcnt vmcnt(0)
	s_delay_alu instid0(VALU_DEP_1) | instskip(SKIP_2) | instid1(VALU_DEP_1)
	v_add_co_u32 v8, vcc_lo, v8, v6
	v_mov_b32_e32 v6, v10
	v_mul_lo_u32 v7, v7, 24
	v_add_nc_u32_e32 v7, v12, v7
	s_delay_alu instid0(VALU_DEP_1)
	v_add_co_ci_u32_e32 v9, vcc_lo, v9, v7, vcc_lo
	v_mov_b32_e32 v7, v11
	global_store_b64 v[8:9], v[10:11], off
	s_waitcnt_vscnt null, 0x0
	global_atomic_cmpswap_b64 v[6:7], v53, v[4:7], s[2:3] offset:24 glc
	s_waitcnt vmcnt(0)
	v_cmp_ne_u64_e32 vcc_lo, v[6:7], v[10:11]
	s_and_b32 exec_lo, exec_lo, vcc_lo
	s_cbranch_execz .LBB2_61
; %bb.59:                               ;   in Loop: Header=BB2_34 Depth=3
	s_mov_b32 s0, 0
.LBB2_60:                               ;   Parent Loop BB2_13 Depth=1
                                        ;     Parent Loop BB2_20 Depth=2
                                        ;       Parent Loop BB2_34 Depth=3
                                        ; =>      This Inner Loop Header: Depth=4
	s_sleep 1
	global_store_b64 v[8:9], v[6:7], off
	s_waitcnt_vscnt null, 0x0
	global_atomic_cmpswap_b64 v[10:11], v53, v[4:7], s[2:3] offset:24 glc
	s_waitcnt vmcnt(0)
	v_cmp_eq_u64_e32 vcc_lo, v[10:11], v[6:7]
	v_dual_mov_b32 v6, v10 :: v_dual_mov_b32 v7, v11
	s_or_b32 s0, vcc_lo, s0
	s_delay_alu instid0(SALU_CYCLE_1)
	s_and_not1_b32 exec_lo, exec_lo, s0
	s_cbranch_execnz .LBB2_60
.LBB2_61:                               ;   in Loop: Header=BB2_34 Depth=3
	s_or_b32 exec_lo, exec_lo, s1
	s_delay_alu instid0(SALU_CYCLE_1)
	s_and_b32 vcc_lo, exec_lo, s41
	s_cbranch_vccz .LBB2_140
; %bb.62:                               ;   in Loop: Header=BB2_34 Depth=3
	s_waitcnt vmcnt(0)
	v_dual_mov_b32 v5, v3 :: v_dual_and_b32 v4, -3, v2
	s_mov_b64 s[6:7], 45
	s_getpc_b64 s[4:5]
	s_add_u32 s4, s4, .str.3@rel32@lo+4
	s_addc_u32 s5, s5, .str.3@rel32@hi+12
	s_branch .LBB2_64
.LBB2_63:                               ;   in Loop: Header=BB2_64 Depth=4
	s_or_b32 exec_lo, exec_lo, s1
	s_sub_u32 s6, s6, s8
	s_subb_u32 s7, s7, s9
	s_add_u32 s4, s4, s8
	s_addc_u32 s5, s5, s9
	s_cmp_lg_u64 s[6:7], 0
	s_cbranch_scc0 .LBB2_139
.LBB2_64:                               ;   Parent Loop BB2_13 Depth=1
                                        ;     Parent Loop BB2_20 Depth=2
                                        ;       Parent Loop BB2_34 Depth=3
                                        ; =>      This Loop Header: Depth=4
                                        ;           Child Loop BB2_67 Depth 5
                                        ;           Child Loop BB2_74 Depth 5
	;; [unrolled: 1-line block ×11, first 2 shown]
	v_cmp_lt_u64_e64 s0, s[6:7], 56
	v_cmp_gt_u64_e64 s1, s[6:7], 7
	s_delay_alu instid0(VALU_DEP_2) | instskip(SKIP_2) | instid1(VALU_DEP_1)
	s_and_b32 s0, s0, exec_lo
	s_cselect_b32 s9, s7, 0
	s_cselect_b32 s8, s6, 56
	s_and_b32 vcc_lo, exec_lo, s1
	s_cbranch_vccnz .LBB2_69
; %bb.65:                               ;   in Loop: Header=BB2_64 Depth=4
	s_waitcnt vmcnt(0)
	v_mov_b32_e32 v6, 0
	v_mov_b32_e32 v7, 0
	s_cmp_eq_u64 s[6:7], 0
	s_mov_b64 s[0:1], 0
	s_cbranch_scc1 .LBB2_68
; %bb.66:                               ;   in Loop: Header=BB2_64 Depth=4
	v_mov_b32_e32 v6, 0
	v_mov_b32_e32 v7, 0
	s_lshl_b64 s[10:11], s[8:9], 3
	s_mov_b64 s[12:13], s[4:5]
.LBB2_67:                               ;   Parent Loop BB2_13 Depth=1
                                        ;     Parent Loop BB2_20 Depth=2
                                        ;       Parent Loop BB2_34 Depth=3
                                        ;         Parent Loop BB2_64 Depth=4
                                        ; =>        This Inner Loop Header: Depth=5
	global_load_u8 v8, v53, s[12:13]
	s_waitcnt vmcnt(0)
	v_and_b32_e32 v52, 0xffff, v8
	s_delay_alu instid0(VALU_DEP_1)
	v_lshlrev_b64 v[8:9], s0, v[52:53]
	s_add_u32 s0, s0, 8
	s_addc_u32 s1, s1, 0
	s_add_u32 s12, s12, 1
	s_addc_u32 s13, s13, 0
	s_cmp_lg_u32 s10, s0
	v_or_b32_e32 v6, v8, v6
	v_or_b32_e32 v7, v9, v7
	s_cbranch_scc1 .LBB2_67
.LBB2_68:                               ;   in Loop: Header=BB2_64 Depth=4
	s_mov_b32 s15, 0
	s_mov_b64 s[0:1], s[4:5]
	s_cbranch_execz .LBB2_70
	s_branch .LBB2_71
.LBB2_69:                               ;   in Loop: Header=BB2_64 Depth=4
                                        ; implicit-def: $sgpr15
	s_mov_b64 s[0:1], s[4:5]
.LBB2_70:                               ;   in Loop: Header=BB2_64 Depth=4
	global_load_b64 v[6:7], v53, s[4:5]
	s_add_i32 s15, s8, -8
	s_add_u32 s0, s4, 8
	s_addc_u32 s1, s5, 0
.LBB2_71:                               ;   in Loop: Header=BB2_64 Depth=4
	s_cmp_gt_u32 s15, 7
	s_cbranch_scc1 .LBB2_76
; %bb.72:                               ;   in Loop: Header=BB2_64 Depth=4
	v_mov_b32_e32 v8, 0
	v_mov_b32_e32 v9, 0
	s_cmp_eq_u32 s15, 0
	s_cbranch_scc1 .LBB2_75
; %bb.73:                               ;   in Loop: Header=BB2_64 Depth=4
	s_mov_b64 s[10:11], 0
	s_mov_b64 s[12:13], 0
.LBB2_74:                               ;   Parent Loop BB2_13 Depth=1
                                        ;     Parent Loop BB2_20 Depth=2
                                        ;       Parent Loop BB2_34 Depth=3
                                        ;         Parent Loop BB2_64 Depth=4
                                        ; =>        This Inner Loop Header: Depth=5
	s_delay_alu instid0(SALU_CYCLE_1)
	s_add_u32 s16, s0, s12
	s_addc_u32 s17, s1, s13
	s_add_u32 s12, s12, 1
	global_load_u8 v10, v53, s[16:17]
	s_addc_u32 s13, s13, 0
	s_waitcnt vmcnt(0)
	v_and_b32_e32 v52, 0xffff, v10
	s_delay_alu instid0(VALU_DEP_1) | instskip(SKIP_3) | instid1(VALU_DEP_1)
	v_lshlrev_b64 v[10:11], s10, v[52:53]
	s_add_u32 s10, s10, 8
	s_addc_u32 s11, s11, 0
	s_cmp_lg_u32 s15, s12
	v_or_b32_e32 v8, v10, v8
	s_delay_alu instid0(VALU_DEP_2)
	v_or_b32_e32 v9, v11, v9
	s_cbranch_scc1 .LBB2_74
.LBB2_75:                               ;   in Loop: Header=BB2_64 Depth=4
	s_mov_b32 s16, 0
	s_cbranch_execz .LBB2_77
	s_branch .LBB2_78
.LBB2_76:                               ;   in Loop: Header=BB2_64 Depth=4
                                        ; implicit-def: $vgpr8_vgpr9
                                        ; implicit-def: $sgpr16
.LBB2_77:                               ;   in Loop: Header=BB2_64 Depth=4
	global_load_b64 v[8:9], v53, s[0:1]
	s_add_i32 s16, s15, -8
	s_add_u32 s0, s0, 8
	s_addc_u32 s1, s1, 0
.LBB2_78:                               ;   in Loop: Header=BB2_64 Depth=4
	s_cmp_gt_u32 s16, 7
	s_cbranch_scc1 .LBB2_83
; %bb.79:                               ;   in Loop: Header=BB2_64 Depth=4
	v_mov_b32_e32 v10, 0
	v_mov_b32_e32 v11, 0
	s_cmp_eq_u32 s16, 0
	s_cbranch_scc1 .LBB2_82
; %bb.80:                               ;   in Loop: Header=BB2_64 Depth=4
	s_mov_b64 s[10:11], 0
	s_mov_b64 s[12:13], 0
.LBB2_81:                               ;   Parent Loop BB2_13 Depth=1
                                        ;     Parent Loop BB2_20 Depth=2
                                        ;       Parent Loop BB2_34 Depth=3
                                        ;         Parent Loop BB2_64 Depth=4
                                        ; =>        This Inner Loop Header: Depth=5
	s_delay_alu instid0(SALU_CYCLE_1)
	s_add_u32 s18, s0, s12
	s_addc_u32 s19, s1, s13
	s_add_u32 s12, s12, 1
	global_load_u8 v12, v53, s[18:19]
	s_addc_u32 s13, s13, 0
	s_waitcnt vmcnt(0)
	v_and_b32_e32 v52, 0xffff, v12
	s_delay_alu instid0(VALU_DEP_1) | instskip(SKIP_3) | instid1(VALU_DEP_1)
	v_lshlrev_b64 v[12:13], s10, v[52:53]
	s_add_u32 s10, s10, 8
	s_addc_u32 s11, s11, 0
	s_cmp_lg_u32 s16, s12
	v_or_b32_e32 v10, v12, v10
	s_delay_alu instid0(VALU_DEP_2)
	v_or_b32_e32 v11, v13, v11
	s_cbranch_scc1 .LBB2_81
.LBB2_82:                               ;   in Loop: Header=BB2_64 Depth=4
	s_mov_b32 s15, 0
	s_cbranch_execz .LBB2_84
	s_branch .LBB2_85
.LBB2_83:                               ;   in Loop: Header=BB2_64 Depth=4
                                        ; implicit-def: $sgpr15
.LBB2_84:                               ;   in Loop: Header=BB2_64 Depth=4
	global_load_b64 v[10:11], v53, s[0:1]
	s_add_i32 s15, s16, -8
	s_add_u32 s0, s0, 8
	s_addc_u32 s1, s1, 0
.LBB2_85:                               ;   in Loop: Header=BB2_64 Depth=4
	s_cmp_gt_u32 s15, 7
	s_cbranch_scc1 .LBB2_90
; %bb.86:                               ;   in Loop: Header=BB2_64 Depth=4
	v_mov_b32_e32 v12, 0
	v_mov_b32_e32 v13, 0
	s_cmp_eq_u32 s15, 0
	s_cbranch_scc1 .LBB2_89
; %bb.87:                               ;   in Loop: Header=BB2_64 Depth=4
	s_mov_b64 s[10:11], 0
	s_mov_b64 s[12:13], 0
.LBB2_88:                               ;   Parent Loop BB2_13 Depth=1
                                        ;     Parent Loop BB2_20 Depth=2
                                        ;       Parent Loop BB2_34 Depth=3
                                        ;         Parent Loop BB2_64 Depth=4
                                        ; =>        This Inner Loop Header: Depth=5
	s_delay_alu instid0(SALU_CYCLE_1)
	s_add_u32 s16, s0, s12
	s_addc_u32 s17, s1, s13
	s_add_u32 s12, s12, 1
	global_load_u8 v14, v53, s[16:17]
	s_addc_u32 s13, s13, 0
	s_waitcnt vmcnt(0)
	v_and_b32_e32 v52, 0xffff, v14
	s_delay_alu instid0(VALU_DEP_1) | instskip(SKIP_3) | instid1(VALU_DEP_1)
	v_lshlrev_b64 v[14:15], s10, v[52:53]
	s_add_u32 s10, s10, 8
	s_addc_u32 s11, s11, 0
	s_cmp_lg_u32 s15, s12
	v_or_b32_e32 v12, v14, v12
	s_delay_alu instid0(VALU_DEP_2)
	v_or_b32_e32 v13, v15, v13
	s_cbranch_scc1 .LBB2_88
.LBB2_89:                               ;   in Loop: Header=BB2_64 Depth=4
	s_mov_b32 s16, 0
	s_cbranch_execz .LBB2_91
	s_branch .LBB2_92
.LBB2_90:                               ;   in Loop: Header=BB2_64 Depth=4
                                        ; implicit-def: $vgpr12_vgpr13
                                        ; implicit-def: $sgpr16
.LBB2_91:                               ;   in Loop: Header=BB2_64 Depth=4
	global_load_b64 v[12:13], v53, s[0:1]
	s_add_i32 s16, s15, -8
	s_add_u32 s0, s0, 8
	s_addc_u32 s1, s1, 0
.LBB2_92:                               ;   in Loop: Header=BB2_64 Depth=4
	s_cmp_gt_u32 s16, 7
	s_cbranch_scc1 .LBB2_97
; %bb.93:                               ;   in Loop: Header=BB2_64 Depth=4
	v_mov_b32_e32 v14, 0
	v_mov_b32_e32 v15, 0
	s_cmp_eq_u32 s16, 0
	s_cbranch_scc1 .LBB2_96
; %bb.94:                               ;   in Loop: Header=BB2_64 Depth=4
	s_mov_b64 s[10:11], 0
	s_mov_b64 s[12:13], 0
.LBB2_95:                               ;   Parent Loop BB2_13 Depth=1
                                        ;     Parent Loop BB2_20 Depth=2
                                        ;       Parent Loop BB2_34 Depth=3
                                        ;         Parent Loop BB2_64 Depth=4
                                        ; =>        This Inner Loop Header: Depth=5
	s_delay_alu instid0(SALU_CYCLE_1)
	s_add_u32 s18, s0, s12
	s_addc_u32 s19, s1, s13
	s_add_u32 s12, s12, 1
	global_load_u8 v16, v53, s[18:19]
	s_addc_u32 s13, s13, 0
	s_waitcnt vmcnt(0)
	v_and_b32_e32 v52, 0xffff, v16
	s_delay_alu instid0(VALU_DEP_1) | instskip(SKIP_3) | instid1(VALU_DEP_1)
	v_lshlrev_b64 v[16:17], s10, v[52:53]
	s_add_u32 s10, s10, 8
	s_addc_u32 s11, s11, 0
	s_cmp_lg_u32 s16, s12
	v_or_b32_e32 v14, v16, v14
	s_delay_alu instid0(VALU_DEP_2)
	v_or_b32_e32 v15, v17, v15
	s_cbranch_scc1 .LBB2_95
.LBB2_96:                               ;   in Loop: Header=BB2_64 Depth=4
	s_mov_b32 s15, 0
	s_cbranch_execz .LBB2_98
	s_branch .LBB2_99
.LBB2_97:                               ;   in Loop: Header=BB2_64 Depth=4
                                        ; implicit-def: $sgpr15
.LBB2_98:                               ;   in Loop: Header=BB2_64 Depth=4
	global_load_b64 v[14:15], v53, s[0:1]
	s_add_i32 s15, s16, -8
	s_add_u32 s0, s0, 8
	s_addc_u32 s1, s1, 0
.LBB2_99:                               ;   in Loop: Header=BB2_64 Depth=4
	s_cmp_gt_u32 s15, 7
	s_cbranch_scc1 .LBB2_104
; %bb.100:                              ;   in Loop: Header=BB2_64 Depth=4
	v_mov_b32_e32 v16, 0
	v_mov_b32_e32 v17, 0
	s_cmp_eq_u32 s15, 0
	s_cbranch_scc1 .LBB2_103
; %bb.101:                              ;   in Loop: Header=BB2_64 Depth=4
	s_mov_b64 s[10:11], 0
	s_mov_b64 s[12:13], 0
.LBB2_102:                              ;   Parent Loop BB2_13 Depth=1
                                        ;     Parent Loop BB2_20 Depth=2
                                        ;       Parent Loop BB2_34 Depth=3
                                        ;         Parent Loop BB2_64 Depth=4
                                        ; =>        This Inner Loop Header: Depth=5
	s_delay_alu instid0(SALU_CYCLE_1)
	s_add_u32 s16, s0, s12
	s_addc_u32 s17, s1, s13
	s_add_u32 s12, s12, 1
	global_load_u8 v18, v53, s[16:17]
	s_addc_u32 s13, s13, 0
	s_waitcnt vmcnt(0)
	v_and_b32_e32 v52, 0xffff, v18
	s_delay_alu instid0(VALU_DEP_1) | instskip(SKIP_3) | instid1(VALU_DEP_1)
	v_lshlrev_b64 v[18:19], s10, v[52:53]
	s_add_u32 s10, s10, 8
	s_addc_u32 s11, s11, 0
	s_cmp_lg_u32 s15, s12
	v_or_b32_e32 v16, v18, v16
	s_delay_alu instid0(VALU_DEP_2)
	v_or_b32_e32 v17, v19, v17
	s_cbranch_scc1 .LBB2_102
.LBB2_103:                              ;   in Loop: Header=BB2_64 Depth=4
	s_mov_b32 s16, 0
	s_cbranch_execz .LBB2_105
	s_branch .LBB2_106
.LBB2_104:                              ;   in Loop: Header=BB2_64 Depth=4
                                        ; implicit-def: $vgpr16_vgpr17
                                        ; implicit-def: $sgpr16
.LBB2_105:                              ;   in Loop: Header=BB2_64 Depth=4
	global_load_b64 v[16:17], v53, s[0:1]
	s_add_i32 s16, s15, -8
	s_add_u32 s0, s0, 8
	s_addc_u32 s1, s1, 0
.LBB2_106:                              ;   in Loop: Header=BB2_64 Depth=4
	s_cmp_gt_u32 s16, 7
	s_cbranch_scc1 .LBB2_111
; %bb.107:                              ;   in Loop: Header=BB2_64 Depth=4
	v_mov_b32_e32 v18, 0
	v_mov_b32_e32 v19, 0
	s_cmp_eq_u32 s16, 0
	s_cbranch_scc1 .LBB2_110
; %bb.108:                              ;   in Loop: Header=BB2_64 Depth=4
	s_mov_b64 s[10:11], 0
	s_mov_b64 s[12:13], s[0:1]
.LBB2_109:                              ;   Parent Loop BB2_13 Depth=1
                                        ;     Parent Loop BB2_20 Depth=2
                                        ;       Parent Loop BB2_34 Depth=3
                                        ;         Parent Loop BB2_64 Depth=4
                                        ; =>        This Inner Loop Header: Depth=5
	global_load_u8 v20, v53, s[12:13]
	s_add_i32 s16, s16, -1
	s_waitcnt vmcnt(0)
	v_and_b32_e32 v52, 0xffff, v20
	s_delay_alu instid0(VALU_DEP_1)
	v_lshlrev_b64 v[20:21], s10, v[52:53]
	s_add_u32 s10, s10, 8
	s_addc_u32 s11, s11, 0
	s_add_u32 s12, s12, 1
	s_addc_u32 s13, s13, 0
	s_cmp_lg_u32 s16, 0
	v_or_b32_e32 v18, v20, v18
	v_or_b32_e32 v19, v21, v19
	s_cbranch_scc1 .LBB2_109
.LBB2_110:                              ;   in Loop: Header=BB2_64 Depth=4
	s_cbranch_execz .LBB2_112
	s_branch .LBB2_113
.LBB2_111:                              ;   in Loop: Header=BB2_64 Depth=4
.LBB2_112:                              ;   in Loop: Header=BB2_64 Depth=4
	global_load_b64 v[18:19], v53, s[0:1]
.LBB2_113:                              ;   in Loop: Header=BB2_64 Depth=4
	v_readfirstlane_b32 s0, v91
	v_mov_b32_e32 v24, 0
	v_mov_b32_e32 v25, 0
	s_delay_alu instid0(VALU_DEP_3) | instskip(NEXT) | instid1(VALU_DEP_1)
	v_cmp_eq_u32_e64 s0, s0, v91
	s_and_saveexec_b32 s1, s0
	s_cbranch_execz .LBB2_119
; %bb.114:                              ;   in Loop: Header=BB2_64 Depth=4
	global_load_b64 v[22:23], v53, s[2:3] offset:24 glc
	s_waitcnt vmcnt(0)
	buffer_gl1_inv
	buffer_gl0_inv
	s_clause 0x1
	global_load_b64 v[20:21], v53, s[2:3] offset:40
	global_load_b64 v[24:25], v53, s[2:3]
	s_mov_b32 s10, exec_lo
	s_waitcnt vmcnt(1)
	v_and_b32_e32 v21, v21, v23
	v_and_b32_e32 v20, v20, v22
	s_delay_alu instid0(VALU_DEP_2) | instskip(NEXT) | instid1(VALU_DEP_2)
	v_mul_lo_u32 v21, v21, 24
	v_mul_hi_u32 v28, v20, 24
	v_mul_lo_u32 v20, v20, 24
	s_delay_alu instid0(VALU_DEP_2) | instskip(SKIP_1) | instid1(VALU_DEP_2)
	v_add_nc_u32_e32 v21, v28, v21
	s_waitcnt vmcnt(0)
	v_add_co_u32 v20, vcc_lo, v24, v20
	s_delay_alu instid0(VALU_DEP_2)
	v_add_co_ci_u32_e32 v21, vcc_lo, v25, v21, vcc_lo
	global_load_b64 v[20:21], v[20:21], off glc
	s_waitcnt vmcnt(0)
	global_atomic_cmpswap_b64 v[24:25], v53, v[20:23], s[2:3] offset:24 glc
	s_waitcnt vmcnt(0)
	buffer_gl1_inv
	buffer_gl0_inv
	v_cmpx_ne_u64_e64 v[24:25], v[22:23]
	s_cbranch_execz .LBB2_118
; %bb.115:                              ;   in Loop: Header=BB2_64 Depth=4
	s_mov_b32 s11, 0
	.p2align	6
.LBB2_116:                              ;   Parent Loop BB2_13 Depth=1
                                        ;     Parent Loop BB2_20 Depth=2
                                        ;       Parent Loop BB2_34 Depth=3
                                        ;         Parent Loop BB2_64 Depth=4
                                        ; =>        This Inner Loop Header: Depth=5
	s_sleep 1
	s_clause 0x1
	global_load_b64 v[20:21], v53, s[2:3] offset:40
	global_load_b64 v[28:29], v53, s[2:3]
	v_dual_mov_b32 v22, v24 :: v_dual_mov_b32 v23, v25
	s_waitcnt vmcnt(1)
	s_delay_alu instid0(VALU_DEP_1) | instskip(NEXT) | instid1(VALU_DEP_2)
	v_and_b32_e32 v20, v20, v22
	v_and_b32_e32 v21, v21, v23
	s_waitcnt vmcnt(0)
	s_delay_alu instid0(VALU_DEP_2) | instskip(NEXT) | instid1(VALU_DEP_1)
	v_mad_u64_u32 v[24:25], null, v20, 24, v[28:29]
	v_mov_b32_e32 v20, v25
	s_delay_alu instid0(VALU_DEP_1) | instskip(NEXT) | instid1(VALU_DEP_1)
	v_mad_u64_u32 v[28:29], null, v21, 24, v[20:21]
	v_mov_b32_e32 v25, v28
	global_load_b64 v[20:21], v[24:25], off glc
	s_waitcnt vmcnt(0)
	global_atomic_cmpswap_b64 v[24:25], v53, v[20:23], s[2:3] offset:24 glc
	s_waitcnt vmcnt(0)
	buffer_gl1_inv
	buffer_gl0_inv
	v_cmp_eq_u64_e32 vcc_lo, v[24:25], v[22:23]
	s_or_b32 s11, vcc_lo, s11
	s_delay_alu instid0(SALU_CYCLE_1)
	s_and_not1_b32 exec_lo, exec_lo, s11
	s_cbranch_execnz .LBB2_116
; %bb.117:                              ;   in Loop: Header=BB2_64 Depth=4
	s_or_b32 exec_lo, exec_lo, s11
.LBB2_118:                              ;   in Loop: Header=BB2_64 Depth=4
	s_delay_alu instid0(SALU_CYCLE_1)
	s_or_b32 exec_lo, exec_lo, s10
.LBB2_119:                              ;   in Loop: Header=BB2_64 Depth=4
	s_delay_alu instid0(SALU_CYCLE_1)
	s_or_b32 exec_lo, exec_lo, s1
	s_clause 0x1
	global_load_b64 v[28:29], v53, s[2:3] offset:40
	global_load_b128 v[20:23], v53, s[2:3]
	v_readfirstlane_b32 s10, v24
	v_readfirstlane_b32 s11, v25
	s_mov_b32 s1, exec_lo
	s_waitcnt vmcnt(1)
	v_readfirstlane_b32 s12, v28
	v_readfirstlane_b32 s13, v29
	s_delay_alu instid0(VALU_DEP_1) | instskip(NEXT) | instid1(SALU_CYCLE_1)
	s_and_b64 s[12:13], s[10:11], s[12:13]
	s_mul_i32 s15, s13, 24
	s_mul_hi_u32 s16, s12, 24
	s_mul_i32 s17, s12, 24
	s_add_i32 s16, s16, s15
	s_waitcnt vmcnt(0)
	v_add_co_u32 v24, vcc_lo, v20, s17
	v_add_co_ci_u32_e32 v25, vcc_lo, s16, v21, vcc_lo
	s_and_saveexec_b32 s15, s0
	s_cbranch_execz .LBB2_121
; %bb.120:                              ;   in Loop: Header=BB2_64 Depth=4
	v_mov_b32_e32 v52, s1
	global_store_b128 v[24:25], v[52:55], off offset:8
.LBB2_121:                              ;   in Loop: Header=BB2_64 Depth=4
	s_or_b32 exec_lo, exec_lo, s15
	s_lshl_b64 s[12:13], s[12:13], 12
	v_or_b32_e32 v28, 2, v4
	v_add_co_u32 v22, vcc_lo, v22, s12
	v_add_co_ci_u32_e32 v23, vcc_lo, s13, v23, vcc_lo
	v_cmp_gt_u64_e64 vcc_lo, s[6:7], 56
	s_lshl_b32 s1, s8, 2
	s_delay_alu instid0(VALU_DEP_3) | instskip(SKIP_4) | instid1(VALU_DEP_1)
	v_readfirstlane_b32 s12, v22
	s_add_i32 s1, s1, 28
	v_readfirstlane_b32 s13, v23
	s_and_b32 s1, s1, 0x1e0
	v_cndmask_b32_e32 v4, v28, v4, vcc_lo
	v_and_or_b32 v4, 0xffffff1f, v4, s1
	s_clause 0x3
	global_store_b128 v27, v[4:7], s[12:13]
	global_store_b128 v27, v[8:11], s[12:13] offset:16
	global_store_b128 v27, v[12:15], s[12:13] offset:32
	;; [unrolled: 1-line block ×3, first 2 shown]
	s_and_saveexec_b32 s1, s0
	s_cbranch_execz .LBB2_129
; %bb.122:                              ;   in Loop: Header=BB2_64 Depth=4
	s_clause 0x1
	global_load_b64 v[12:13], v53, s[2:3] offset:32 glc
	global_load_b64 v[4:5], v53, s[2:3] offset:40
	v_dual_mov_b32 v10, s10 :: v_dual_mov_b32 v11, s11
	s_waitcnt vmcnt(0)
	v_readfirstlane_b32 s12, v4
	v_readfirstlane_b32 s13, v5
	s_delay_alu instid0(VALU_DEP_1) | instskip(NEXT) | instid1(SALU_CYCLE_1)
	s_and_b64 s[12:13], s[12:13], s[10:11]
	s_mul_i32 s13, s13, 24
	s_mul_hi_u32 s15, s12, 24
	s_mul_i32 s12, s12, 24
	s_add_i32 s15, s15, s13
	v_add_co_u32 v8, vcc_lo, v20, s12
	v_add_co_ci_u32_e32 v9, vcc_lo, s15, v21, vcc_lo
	s_mov_b32 s12, exec_lo
	global_store_b64 v[8:9], v[12:13], off
	s_waitcnt_vscnt null, 0x0
	global_atomic_cmpswap_b64 v[6:7], v53, v[10:13], s[2:3] offset:32 glc
	s_waitcnt vmcnt(0)
	v_cmpx_ne_u64_e64 v[6:7], v[12:13]
	s_cbranch_execz .LBB2_125
; %bb.123:                              ;   in Loop: Header=BB2_64 Depth=4
	s_mov_b32 s13, 0
.LBB2_124:                              ;   Parent Loop BB2_13 Depth=1
                                        ;     Parent Loop BB2_20 Depth=2
                                        ;       Parent Loop BB2_34 Depth=3
                                        ;         Parent Loop BB2_64 Depth=4
                                        ; =>        This Inner Loop Header: Depth=5
	v_dual_mov_b32 v4, s10 :: v_dual_mov_b32 v5, s11
	s_sleep 1
	global_store_b64 v[8:9], v[6:7], off
	s_waitcnt_vscnt null, 0x0
	global_atomic_cmpswap_b64 v[4:5], v53, v[4:7], s[2:3] offset:32 glc
	s_waitcnt vmcnt(0)
	v_cmp_eq_u64_e32 vcc_lo, v[4:5], v[6:7]
	v_dual_mov_b32 v7, v5 :: v_dual_mov_b32 v6, v4
	s_or_b32 s13, vcc_lo, s13
	s_delay_alu instid0(SALU_CYCLE_1)
	s_and_not1_b32 exec_lo, exec_lo, s13
	s_cbranch_execnz .LBB2_124
.LBB2_125:                              ;   in Loop: Header=BB2_64 Depth=4
	s_or_b32 exec_lo, exec_lo, s12
	global_load_b64 v[4:5], v53, s[2:3] offset:16
	s_mov_b32 s13, exec_lo
	s_mov_b32 s12, exec_lo
	v_mbcnt_lo_u32_b32 v6, s13, 0
	s_delay_alu instid0(VALU_DEP_1)
	v_cmpx_eq_u32_e32 0, v6
	s_cbranch_execz .LBB2_127
; %bb.126:                              ;   in Loop: Header=BB2_64 Depth=4
	s_bcnt1_i32_b32 s13, s13
	s_delay_alu instid0(SALU_CYCLE_1)
	v_mov_b32_e32 v52, s13
	s_waitcnt vmcnt(0)
	global_atomic_add_u64 v[4:5], v[52:53], off offset:8
.LBB2_127:                              ;   in Loop: Header=BB2_64 Depth=4
	s_or_b32 exec_lo, exec_lo, s12
	s_waitcnt vmcnt(0)
	global_load_b64 v[6:7], v[4:5], off offset:16
	s_waitcnt vmcnt(0)
	v_cmp_eq_u64_e32 vcc_lo, 0, v[6:7]
	s_cbranch_vccnz .LBB2_129
; %bb.128:                              ;   in Loop: Header=BB2_64 Depth=4
	global_load_b32 v52, v[4:5], off offset:24
	s_waitcnt vmcnt(0)
	v_and_b32_e32 v4, 0xffffff, v52
	s_waitcnt_vscnt null, 0x0
	global_store_b64 v[6:7], v[52:53], off
	v_readfirstlane_b32 m0, v4
	s_sendmsg sendmsg(MSG_INTERRUPT)
.LBB2_129:                              ;   in Loop: Header=BB2_64 Depth=4
	s_or_b32 exec_lo, exec_lo, s1
	v_add_co_u32 v4, vcc_lo, v22, v27
	v_add_co_ci_u32_e32 v5, vcc_lo, 0, v23, vcc_lo
	s_branch .LBB2_133
	.p2align	6
.LBB2_130:                              ;   in Loop: Header=BB2_133 Depth=5
	s_or_b32 exec_lo, exec_lo, s1
	s_delay_alu instid0(VALU_DEP_1) | instskip(NEXT) | instid1(VALU_DEP_1)
	v_readfirstlane_b32 s1, v6
	s_cmp_eq_u32 s1, 0
	s_cbranch_scc1 .LBB2_132
; %bb.131:                              ;   in Loop: Header=BB2_133 Depth=5
	s_sleep 1
	s_cbranch_execnz .LBB2_133
	s_branch .LBB2_135
	.p2align	6
.LBB2_132:                              ;   in Loop: Header=BB2_64 Depth=4
	s_branch .LBB2_135
.LBB2_133:                              ;   Parent Loop BB2_13 Depth=1
                                        ;     Parent Loop BB2_20 Depth=2
                                        ;       Parent Loop BB2_34 Depth=3
                                        ;         Parent Loop BB2_64 Depth=4
                                        ; =>        This Inner Loop Header: Depth=5
	v_mov_b32_e32 v6, 1
	s_and_saveexec_b32 s1, s0
	s_cbranch_execz .LBB2_130
; %bb.134:                              ;   in Loop: Header=BB2_133 Depth=5
	global_load_b32 v6, v[24:25], off offset:20 glc
	s_waitcnt vmcnt(0)
	buffer_gl1_inv
	buffer_gl0_inv
	v_and_b32_e32 v6, 1, v6
	s_branch .LBB2_130
.LBB2_135:                              ;   in Loop: Header=BB2_64 Depth=4
	global_load_b128 v[4:7], v[4:5], off
	s_and_saveexec_b32 s1, s0
	s_cbranch_execz .LBB2_63
; %bb.136:                              ;   in Loop: Header=BB2_64 Depth=4
	s_clause 0x2
	global_load_b64 v[8:9], v53, s[2:3] offset:40
	global_load_b64 v[12:13], v53, s[2:3] offset:24 glc
	global_load_b64 v[10:11], v53, s[2:3]
	s_waitcnt vmcnt(2)
	v_add_co_u32 v14, vcc_lo, v8, 1
	v_add_co_ci_u32_e32 v15, vcc_lo, 0, v9, vcc_lo
	s_delay_alu instid0(VALU_DEP_2) | instskip(NEXT) | instid1(VALU_DEP_2)
	v_add_co_u32 v6, vcc_lo, v14, s10
	v_add_co_ci_u32_e32 v7, vcc_lo, s11, v15, vcc_lo
	s_delay_alu instid0(VALU_DEP_1) | instskip(SKIP_1) | instid1(VALU_DEP_1)
	v_cmp_eq_u64_e32 vcc_lo, 0, v[6:7]
	v_dual_cndmask_b32 v7, v7, v15 :: v_dual_cndmask_b32 v6, v6, v14
	v_and_b32_e32 v9, v7, v9
	s_delay_alu instid0(VALU_DEP_2) | instskip(NEXT) | instid1(VALU_DEP_1)
	v_and_b32_e32 v8, v6, v8
	v_mul_hi_u32 v14, v8, 24
	v_mul_lo_u32 v8, v8, 24
	s_waitcnt vmcnt(0)
	s_delay_alu instid0(VALU_DEP_1) | instskip(SKIP_2) | instid1(VALU_DEP_1)
	v_add_co_u32 v10, vcc_lo, v10, v8
	v_mov_b32_e32 v8, v12
	v_mul_lo_u32 v9, v9, 24
	v_add_nc_u32_e32 v9, v14, v9
	s_delay_alu instid0(VALU_DEP_1)
	v_add_co_ci_u32_e32 v11, vcc_lo, v11, v9, vcc_lo
	v_mov_b32_e32 v9, v13
	global_store_b64 v[10:11], v[12:13], off
	s_waitcnt_vscnt null, 0x0
	global_atomic_cmpswap_b64 v[8:9], v53, v[6:9], s[2:3] offset:24 glc
	s_waitcnt vmcnt(0)
	v_cmp_ne_u64_e32 vcc_lo, v[8:9], v[12:13]
	s_and_b32 exec_lo, exec_lo, vcc_lo
	s_cbranch_execz .LBB2_63
; %bb.137:                              ;   in Loop: Header=BB2_64 Depth=4
	s_mov_b32 s0, 0
.LBB2_138:                              ;   Parent Loop BB2_13 Depth=1
                                        ;     Parent Loop BB2_20 Depth=2
                                        ;       Parent Loop BB2_34 Depth=3
                                        ;         Parent Loop BB2_64 Depth=4
                                        ; =>        This Inner Loop Header: Depth=5
	s_sleep 1
	global_store_b64 v[10:11], v[8:9], off
	s_waitcnt_vscnt null, 0x0
	global_atomic_cmpswap_b64 v[12:13], v53, v[6:9], s[2:3] offset:24 glc
	s_waitcnt vmcnt(0)
	v_cmp_eq_u64_e32 vcc_lo, v[12:13], v[8:9]
	v_dual_mov_b32 v8, v12 :: v_dual_mov_b32 v9, v13
	s_or_b32 s0, vcc_lo, s0
	s_delay_alu instid0(SALU_CYCLE_1)
	s_and_not1_b32 exec_lo, exec_lo, s0
	s_cbranch_execnz .LBB2_138
	s_branch .LBB2_63
.LBB2_139:                              ;   in Loop: Header=BB2_34 Depth=3
	s_branch .LBB2_167
.LBB2_140:                              ;   in Loop: Header=BB2_34 Depth=3
	s_cbranch_execz .LBB2_167
; %bb.141:                              ;   in Loop: Header=BB2_34 Depth=3
	v_readfirstlane_b32 s0, v91
	s_waitcnt vmcnt(0)
	v_mov_b32_e32 v4, 0
	v_mov_b32_e32 v5, 0
	s_delay_alu instid0(VALU_DEP_3) | instskip(NEXT) | instid1(VALU_DEP_1)
	v_cmp_eq_u32_e64 s0, s0, v91
	s_and_saveexec_b32 s1, s0
	s_cbranch_execz .LBB2_147
; %bb.142:                              ;   in Loop: Header=BB2_34 Depth=3
	global_load_b64 v[6:7], v53, s[2:3] offset:24 glc
	s_waitcnt vmcnt(0)
	buffer_gl1_inv
	buffer_gl0_inv
	s_clause 0x1
	global_load_b64 v[4:5], v53, s[2:3] offset:40
	global_load_b64 v[8:9], v53, s[2:3]
	s_mov_b32 s4, exec_lo
	s_waitcnt vmcnt(1)
	v_and_b32_e32 v5, v5, v7
	v_and_b32_e32 v4, v4, v6
	s_delay_alu instid0(VALU_DEP_2) | instskip(NEXT) | instid1(VALU_DEP_2)
	v_mul_lo_u32 v5, v5, 24
	v_mul_hi_u32 v10, v4, 24
	v_mul_lo_u32 v4, v4, 24
	s_delay_alu instid0(VALU_DEP_2) | instskip(SKIP_1) | instid1(VALU_DEP_2)
	v_add_nc_u32_e32 v5, v10, v5
	s_waitcnt vmcnt(0)
	v_add_co_u32 v4, vcc_lo, v8, v4
	s_delay_alu instid0(VALU_DEP_2)
	v_add_co_ci_u32_e32 v5, vcc_lo, v9, v5, vcc_lo
	global_load_b64 v[4:5], v[4:5], off glc
	s_waitcnt vmcnt(0)
	global_atomic_cmpswap_b64 v[4:5], v53, v[4:7], s[2:3] offset:24 glc
	s_waitcnt vmcnt(0)
	buffer_gl1_inv
	buffer_gl0_inv
	v_cmpx_ne_u64_e64 v[4:5], v[6:7]
	s_cbranch_execz .LBB2_146
; %bb.143:                              ;   in Loop: Header=BB2_34 Depth=3
	s_mov_b32 s5, 0
	.p2align	6
.LBB2_144:                              ;   Parent Loop BB2_13 Depth=1
                                        ;     Parent Loop BB2_20 Depth=2
                                        ;       Parent Loop BB2_34 Depth=3
                                        ; =>      This Inner Loop Header: Depth=4
	s_sleep 1
	s_clause 0x1
	global_load_b64 v[8:9], v53, s[2:3] offset:40
	global_load_b64 v[10:11], v53, s[2:3]
	v_dual_mov_b32 v7, v5 :: v_dual_mov_b32 v6, v4
	s_waitcnt vmcnt(1)
	s_delay_alu instid0(VALU_DEP_1) | instskip(SKIP_1) | instid1(VALU_DEP_1)
	v_and_b32_e32 v8, v8, v6
	s_waitcnt vmcnt(0)
	v_mad_u64_u32 v[4:5], null, v8, 24, v[10:11]
	v_and_b32_e32 v10, v9, v7
	s_delay_alu instid0(VALU_DEP_1) | instskip(NEXT) | instid1(VALU_DEP_1)
	v_mad_u64_u32 v[8:9], null, v10, 24, v[5:6]
	v_mov_b32_e32 v5, v8
	global_load_b64 v[4:5], v[4:5], off glc
	s_waitcnt vmcnt(0)
	global_atomic_cmpswap_b64 v[4:5], v53, v[4:7], s[2:3] offset:24 glc
	s_waitcnt vmcnt(0)
	buffer_gl1_inv
	buffer_gl0_inv
	v_cmp_eq_u64_e32 vcc_lo, v[4:5], v[6:7]
	s_or_b32 s5, vcc_lo, s5
	s_delay_alu instid0(SALU_CYCLE_1)
	s_and_not1_b32 exec_lo, exec_lo, s5
	s_cbranch_execnz .LBB2_144
; %bb.145:                              ;   in Loop: Header=BB2_34 Depth=3
	s_or_b32 exec_lo, exec_lo, s5
.LBB2_146:                              ;   in Loop: Header=BB2_34 Depth=3
	s_delay_alu instid0(SALU_CYCLE_1)
	s_or_b32 exec_lo, exec_lo, s4
.LBB2_147:                              ;   in Loop: Header=BB2_34 Depth=3
	s_delay_alu instid0(SALU_CYCLE_1)
	s_or_b32 exec_lo, exec_lo, s1
	s_clause 0x1
	global_load_b64 v[10:11], v53, s[2:3] offset:40
	global_load_b128 v[6:9], v53, s[2:3]
	v_readfirstlane_b32 s4, v4
	v_readfirstlane_b32 s5, v5
	s_mov_b32 s1, exec_lo
	s_waitcnt vmcnt(1)
	v_readfirstlane_b32 s6, v10
	v_readfirstlane_b32 s7, v11
	s_delay_alu instid0(VALU_DEP_1) | instskip(NEXT) | instid1(SALU_CYCLE_1)
	s_and_b64 s[6:7], s[4:5], s[6:7]
	s_mul_i32 s8, s7, 24
	s_mul_hi_u32 s9, s6, 24
	s_mul_i32 s10, s6, 24
	s_add_i32 s9, s9, s8
	s_waitcnt vmcnt(0)
	v_add_co_u32 v10, vcc_lo, v6, s10
	v_add_co_ci_u32_e32 v11, vcc_lo, s9, v7, vcc_lo
	s_and_saveexec_b32 s8, s0
	s_cbranch_execz .LBB2_149
; %bb.148:                              ;   in Loop: Header=BB2_34 Depth=3
	v_mov_b32_e32 v52, s1
	global_store_b128 v[10:11], v[52:55], off offset:8
.LBB2_149:                              ;   in Loop: Header=BB2_34 Depth=3
	s_or_b32 exec_lo, exec_lo, s8
	s_lshl_b64 s[6:7], s[6:7], 12
	s_mov_b32 s37, s36
	v_add_co_u32 v8, vcc_lo, v8, s6
	v_add_co_ci_u32_e32 v9, vcc_lo, s7, v9, vcc_lo
	s_mov_b32 s38, s36
	s_mov_b32 s39, s36
	v_and_or_b32 v2, 0xffffff1d, v2, 34
	v_mov_b32_e32 v4, v53
	v_dual_mov_b32 v5, v53 :: v_dual_mov_b32 v12, s36
	v_readfirstlane_b32 s6, v8
	v_readfirstlane_b32 s7, v9
	v_dual_mov_b32 v13, s37 :: v_dual_mov_b32 v14, s38
	v_mov_b32_e32 v15, s39
	s_clause 0x3
	global_store_b128 v27, v[2:5], s[6:7]
	global_store_b128 v27, v[12:15], s[6:7] offset:16
	global_store_b128 v27, v[12:15], s[6:7] offset:32
	;; [unrolled: 1-line block ×3, first 2 shown]
	s_and_saveexec_b32 s1, s0
	s_cbranch_execz .LBB2_157
; %bb.150:                              ;   in Loop: Header=BB2_34 Depth=3
	s_clause 0x1
	global_load_b64 v[14:15], v53, s[2:3] offset:32 glc
	global_load_b64 v[2:3], v53, s[2:3] offset:40
	v_dual_mov_b32 v12, s4 :: v_dual_mov_b32 v13, s5
	s_waitcnt vmcnt(0)
	v_readfirstlane_b32 s6, v2
	v_readfirstlane_b32 s7, v3
	s_delay_alu instid0(VALU_DEP_1) | instskip(NEXT) | instid1(SALU_CYCLE_1)
	s_and_b64 s[6:7], s[6:7], s[4:5]
	s_mul_i32 s7, s7, 24
	s_mul_hi_u32 s8, s6, 24
	s_mul_i32 s6, s6, 24
	s_add_i32 s8, s8, s7
	v_add_co_u32 v6, vcc_lo, v6, s6
	v_add_co_ci_u32_e32 v7, vcc_lo, s8, v7, vcc_lo
	s_mov_b32 s6, exec_lo
	global_store_b64 v[6:7], v[14:15], off
	s_waitcnt_vscnt null, 0x0
	global_atomic_cmpswap_b64 v[4:5], v53, v[12:15], s[2:3] offset:32 glc
	s_waitcnt vmcnt(0)
	v_cmpx_ne_u64_e64 v[4:5], v[14:15]
	s_cbranch_execz .LBB2_153
; %bb.151:                              ;   in Loop: Header=BB2_34 Depth=3
	s_mov_b32 s7, 0
.LBB2_152:                              ;   Parent Loop BB2_13 Depth=1
                                        ;     Parent Loop BB2_20 Depth=2
                                        ;       Parent Loop BB2_34 Depth=3
                                        ; =>      This Inner Loop Header: Depth=4
	v_dual_mov_b32 v2, s4 :: v_dual_mov_b32 v3, s5
	s_sleep 1
	global_store_b64 v[6:7], v[4:5], off
	s_waitcnt_vscnt null, 0x0
	global_atomic_cmpswap_b64 v[2:3], v53, v[2:5], s[2:3] offset:32 glc
	s_waitcnt vmcnt(0)
	v_cmp_eq_u64_e32 vcc_lo, v[2:3], v[4:5]
	v_dual_mov_b32 v5, v3 :: v_dual_mov_b32 v4, v2
	s_or_b32 s7, vcc_lo, s7
	s_delay_alu instid0(SALU_CYCLE_1)
	s_and_not1_b32 exec_lo, exec_lo, s7
	s_cbranch_execnz .LBB2_152
.LBB2_153:                              ;   in Loop: Header=BB2_34 Depth=3
	s_or_b32 exec_lo, exec_lo, s6
	global_load_b64 v[2:3], v53, s[2:3] offset:16
	s_mov_b32 s7, exec_lo
	s_mov_b32 s6, exec_lo
	v_mbcnt_lo_u32_b32 v4, s7, 0
	s_delay_alu instid0(VALU_DEP_1)
	v_cmpx_eq_u32_e32 0, v4
	s_cbranch_execz .LBB2_155
; %bb.154:                              ;   in Loop: Header=BB2_34 Depth=3
	s_bcnt1_i32_b32 s7, s7
	s_delay_alu instid0(SALU_CYCLE_1)
	v_mov_b32_e32 v52, s7
	s_waitcnt vmcnt(0)
	global_atomic_add_u64 v[2:3], v[52:53], off offset:8
.LBB2_155:                              ;   in Loop: Header=BB2_34 Depth=3
	s_or_b32 exec_lo, exec_lo, s6
	s_waitcnt vmcnt(0)
	global_load_b64 v[4:5], v[2:3], off offset:16
	s_waitcnt vmcnt(0)
	v_cmp_eq_u64_e32 vcc_lo, 0, v[4:5]
	s_cbranch_vccnz .LBB2_157
; %bb.156:                              ;   in Loop: Header=BB2_34 Depth=3
	global_load_b32 v52, v[2:3], off offset:24
	s_waitcnt vmcnt(0)
	v_and_b32_e32 v2, 0xffffff, v52
	s_waitcnt_vscnt null, 0x0
	global_store_b64 v[4:5], v[52:53], off
	v_readfirstlane_b32 m0, v2
	s_sendmsg sendmsg(MSG_INTERRUPT)
.LBB2_157:                              ;   in Loop: Header=BB2_34 Depth=3
	s_or_b32 exec_lo, exec_lo, s1
	s_branch .LBB2_161
	.p2align	6
.LBB2_158:                              ;   in Loop: Header=BB2_161 Depth=4
	s_or_b32 exec_lo, exec_lo, s1
	s_delay_alu instid0(VALU_DEP_1) | instskip(NEXT) | instid1(VALU_DEP_1)
	v_readfirstlane_b32 s1, v2
	s_cmp_eq_u32 s1, 0
	s_cbranch_scc1 .LBB2_160
; %bb.159:                              ;   in Loop: Header=BB2_161 Depth=4
	s_sleep 1
	s_cbranch_execnz .LBB2_161
	s_branch .LBB2_163
	.p2align	6
.LBB2_160:                              ;   in Loop: Header=BB2_34 Depth=3
	s_branch .LBB2_163
.LBB2_161:                              ;   Parent Loop BB2_13 Depth=1
                                        ;     Parent Loop BB2_20 Depth=2
                                        ;       Parent Loop BB2_34 Depth=3
                                        ; =>      This Inner Loop Header: Depth=4
	v_mov_b32_e32 v2, 1
	s_and_saveexec_b32 s1, s0
	s_cbranch_execz .LBB2_158
; %bb.162:                              ;   in Loop: Header=BB2_161 Depth=4
	global_load_b32 v2, v[10:11], off offset:20 glc
	s_waitcnt vmcnt(0)
	buffer_gl1_inv
	buffer_gl0_inv
	v_and_b32_e32 v2, 1, v2
	s_branch .LBB2_158
.LBB2_163:                              ;   in Loop: Header=BB2_34 Depth=3
	s_and_b32 exec_lo, exec_lo, s0
	s_cbranch_execz .LBB2_167
; %bb.164:                              ;   in Loop: Header=BB2_34 Depth=3
	s_clause 0x2
	global_load_b64 v[4:5], v53, s[2:3] offset:40
	global_load_b64 v[8:9], v53, s[2:3] offset:24 glc
	global_load_b64 v[6:7], v53, s[2:3]
	s_waitcnt vmcnt(2)
	v_add_co_u32 v10, vcc_lo, v4, 1
	v_add_co_ci_u32_e32 v11, vcc_lo, 0, v5, vcc_lo
	s_delay_alu instid0(VALU_DEP_2) | instskip(NEXT) | instid1(VALU_DEP_2)
	v_add_co_u32 v2, vcc_lo, v10, s4
	v_add_co_ci_u32_e32 v3, vcc_lo, s5, v11, vcc_lo
	s_delay_alu instid0(VALU_DEP_1) | instskip(SKIP_1) | instid1(VALU_DEP_1)
	v_cmp_eq_u64_e32 vcc_lo, 0, v[2:3]
	v_dual_cndmask_b32 v3, v3, v11 :: v_dual_cndmask_b32 v2, v2, v10
	v_and_b32_e32 v5, v3, v5
	s_delay_alu instid0(VALU_DEP_2) | instskip(NEXT) | instid1(VALU_DEP_1)
	v_and_b32_e32 v4, v2, v4
	v_mul_hi_u32 v10, v4, 24
	v_mul_lo_u32 v4, v4, 24
	s_waitcnt vmcnt(0)
	s_delay_alu instid0(VALU_DEP_1) | instskip(SKIP_2) | instid1(VALU_DEP_1)
	v_add_co_u32 v6, vcc_lo, v6, v4
	v_mov_b32_e32 v4, v8
	v_mul_lo_u32 v5, v5, 24
	v_add_nc_u32_e32 v5, v10, v5
	s_delay_alu instid0(VALU_DEP_1)
	v_add_co_ci_u32_e32 v7, vcc_lo, v7, v5, vcc_lo
	v_mov_b32_e32 v5, v9
	global_store_b64 v[6:7], v[8:9], off
	s_waitcnt_vscnt null, 0x0
	global_atomic_cmpswap_b64 v[4:5], v53, v[2:5], s[2:3] offset:24 glc
	s_waitcnt vmcnt(0)
	v_cmp_ne_u64_e32 vcc_lo, v[4:5], v[8:9]
	s_and_b32 exec_lo, exec_lo, vcc_lo
	s_cbranch_execz .LBB2_167
; %bb.165:                              ;   in Loop: Header=BB2_34 Depth=3
	s_mov_b32 s0, 0
.LBB2_166:                              ;   Parent Loop BB2_13 Depth=1
                                        ;     Parent Loop BB2_20 Depth=2
                                        ;       Parent Loop BB2_34 Depth=3
                                        ; =>      This Inner Loop Header: Depth=4
	s_sleep 1
	global_store_b64 v[6:7], v[4:5], off
	s_waitcnt_vscnt null, 0x0
	global_atomic_cmpswap_b64 v[8:9], v53, v[2:5], s[2:3] offset:24 glc
	s_waitcnt vmcnt(0)
	v_cmp_eq_u64_e32 vcc_lo, v[8:9], v[4:5]
	v_dual_mov_b32 v4, v8 :: v_dual_mov_b32 v5, v9
	s_or_b32 s0, vcc_lo, s0
	s_delay_alu instid0(SALU_CYCLE_1)
	s_and_not1_b32 exec_lo, exec_lo, s0
	s_cbranch_execnz .LBB2_166
.LBB2_167:                              ;   in Loop: Header=BB2_34 Depth=3
	s_or_b32 exec_lo, exec_lo, s14
	s_waitcnt vmcnt(0)
	v_add_co_u32 v2, vcc_lo, v100, v26
	v_add_co_ci_u32_e32 v3, vcc_lo, 0, v101, vcc_lo
	s_mov_b32 s1, exec_lo
	global_load_u8 v4, v[2:3], off
	s_waitcnt vmcnt(0)
	v_cmpx_ne_u16_e32 0x4e, v4
	s_cbranch_execz .LBB2_33
; %bb.168:                              ;   in Loop: Header=BB2_34 Depth=3
	v_add_co_u32 v2, vcc_lo, v102, v26
	v_add_co_ci_u32_e32 v3, vcc_lo, 0, v103, vcc_lo
	s_mov_b32 s2, exec_lo
	global_load_i8 v2, v[2:3], off
	s_waitcnt vmcnt(0)
	v_subrev_nc_u32_e32 v5, s42, v2
	s_delay_alu instid0(VALU_DEP_1)
	v_cmpx_lt_i32_e32 9, v5
	s_cbranch_execz .LBB2_173
; %bb.169:                              ;   in Loop: Header=BB2_34 Depth=3
	s_mov_b32 s3, 0
	s_mov_b32 s0, exec_lo
                                        ; implicit-def: $vgpr2_vgpr3
	v_cmpx_lt_i16_e32 0x46, v4
	s_xor_b32 s0, exec_lo, s0
	s_cbranch_execnz .LBB2_177
; %bb.170:                              ;   in Loop: Header=BB2_34 Depth=3
	s_and_not1_saveexec_b32 s4, s0
	s_cbranch_execnz .LBB2_186
.LBB2_171:                              ;   in Loop: Header=BB2_34 Depth=3
	s_or_b32 exec_lo, exec_lo, s4
	s_delay_alu instid0(SALU_CYCLE_1)
	s_and_b32 exec_lo, exec_lo, s3
	s_cbranch_execz .LBB2_173
.LBB2_172:                              ;   in Loop: Header=BB2_34 Depth=3
	flat_atomic_add_u32 v[2:3], v55
.LBB2_173:                              ;   in Loop: Header=BB2_34 Depth=3
	s_or_b32 exec_lo, exec_lo, s2
	v_cmp_lt_i32_e32 vcc_lo, 19, v5
	s_and_b32 exec_lo, exec_lo, vcc_lo
	s_cbranch_execz .LBB2_33
; %bb.174:                              ;   in Loop: Header=BB2_34 Depth=3
	s_mov_b32 s2, 0
	s_mov_b32 s0, exec_lo
                                        ; implicit-def: $vgpr2_vgpr3
	v_cmpx_lt_i16_e32 0x46, v4
	s_xor_b32 s0, exec_lo, s0
	s_cbranch_execnz .LBB2_193
; %bb.175:                              ;   in Loop: Header=BB2_34 Depth=3
	s_and_not1_saveexec_b32 s3, s0
	s_cbranch_execnz .LBB2_202
.LBB2_176:                              ;   in Loop: Header=BB2_34 Depth=3
	s_or_b32 exec_lo, exec_lo, s3
	s_delay_alu instid0(SALU_CYCLE_1)
	s_and_b32 exec_lo, exec_lo, s2
	s_cbranch_execz .LBB2_33
	s_branch .LBB2_209
.LBB2_177:                              ;   in Loop: Header=BB2_34 Depth=3
	s_mov_b32 s4, exec_lo
                                        ; implicit-def: $vgpr2_vgpr3
	v_cmpx_lt_i16_e32 0x53, v4
	s_xor_b32 s4, exec_lo, s4
	s_cbranch_execz .LBB2_181
; %bb.178:                              ;   in Loop: Header=BB2_34 Depth=3
	s_mov_b32 s5, exec_lo
                                        ; implicit-def: $vgpr2_vgpr3
	v_cmpx_eq_u16_e32 0x54, v4
; %bb.179:                              ;   in Loop: Header=BB2_34 Depth=3
	v_add_co_u32 v2, vcc_lo, v0, 44
	s_mov_b32 s3, exec_lo
	v_add_co_ci_u32_e32 v3, vcc_lo, 0, v1, vcc_lo
; %bb.180:                              ;   in Loop: Header=BB2_34 Depth=3
	s_or_b32 exec_lo, exec_lo, s5
	s_delay_alu instid0(SALU_CYCLE_1)
	s_and_b32 s3, s3, exec_lo
.LBB2_181:                              ;   in Loop: Header=BB2_34 Depth=3
	s_and_not1_saveexec_b32 s4, s4
	s_cbranch_execz .LBB2_185
; %bb.182:                              ;   in Loop: Header=BB2_34 Depth=3
	s_mov_b32 s5, s3
	s_mov_b32 s6, exec_lo
                                        ; implicit-def: $vgpr2_vgpr3
	v_cmpx_eq_u16_e32 0x47, v4
; %bb.183:                              ;   in Loop: Header=BB2_34 Depth=3
	v_add_co_u32 v2, vcc_lo, v0, 40
	v_add_co_ci_u32_e32 v3, vcc_lo, 0, v1, vcc_lo
	s_or_b32 s5, s3, exec_lo
; %bb.184:                              ;   in Loop: Header=BB2_34 Depth=3
	s_or_b32 exec_lo, exec_lo, s6
	s_delay_alu instid0(SALU_CYCLE_1) | instskip(SKIP_1) | instid1(SALU_CYCLE_1)
	s_and_not1_b32 s3, s3, exec_lo
	s_and_b32 s5, s5, exec_lo
	s_or_b32 s3, s3, s5
.LBB2_185:                              ;   in Loop: Header=BB2_34 Depth=3
	s_or_b32 exec_lo, exec_lo, s4
	s_delay_alu instid0(SALU_CYCLE_1)
	s_and_b32 s3, s3, exec_lo
	s_and_not1_saveexec_b32 s4, s0
	s_cbranch_execz .LBB2_171
.LBB2_186:                              ;   in Loop: Header=BB2_34 Depth=3
	s_mov_b32 s5, s3
	s_mov_b32 s0, exec_lo
                                        ; implicit-def: $vgpr2_vgpr3
	v_cmpx_lt_i16_e32 0x42, v4
	s_xor_b32 s0, exec_lo, s0
	s_cbranch_execz .LBB2_190
; %bb.187:                              ;   in Loop: Header=BB2_34 Depth=3
	s_mov_b32 s5, s3
	s_mov_b32 s6, exec_lo
                                        ; implicit-def: $vgpr2_vgpr3
	v_cmpx_eq_u16_e32 0x43, v4
; %bb.188:                              ;   in Loop: Header=BB2_34 Depth=3
	v_add_co_u32 v2, vcc_lo, v0, 36
	v_add_co_ci_u32_e32 v3, vcc_lo, 0, v1, vcc_lo
	s_or_b32 s5, s3, exec_lo
; %bb.189:                              ;   in Loop: Header=BB2_34 Depth=3
	s_or_b32 exec_lo, exec_lo, s6
	s_delay_alu instid0(SALU_CYCLE_1) | instskip(SKIP_1) | instid1(SALU_CYCLE_1)
	s_and_not1_b32 s6, s3, exec_lo
	s_and_b32 s5, s5, exec_lo
	s_or_b32 s5, s6, s5
.LBB2_190:                              ;   in Loop: Header=BB2_34 Depth=3
	s_and_not1_saveexec_b32 s6, s0
; %bb.191:                              ;   in Loop: Header=BB2_34 Depth=3
	v_cmp_eq_u16_e32 vcc_lo, 0x41, v4
	v_add_co_u32 v2, s0, v0, 32
	s_delay_alu instid0(VALU_DEP_1) | instskip(SKIP_2) | instid1(SALU_CYCLE_1)
	v_add_co_ci_u32_e64 v3, s0, 0, v1, s0
	s_and_not1_b32 s0, s5, exec_lo
	s_and_b32 s5, vcc_lo, exec_lo
	s_or_b32 s5, s0, s5
; %bb.192:                              ;   in Loop: Header=BB2_34 Depth=3
	s_or_b32 exec_lo, exec_lo, s6
	s_delay_alu instid0(SALU_CYCLE_1) | instskip(SKIP_1) | instid1(SALU_CYCLE_1)
	s_and_not1_b32 s0, s3, exec_lo
	s_and_b32 s3, s5, exec_lo
	s_or_b32 s3, s0, s3
	s_or_b32 exec_lo, exec_lo, s4
	s_delay_alu instid0(SALU_CYCLE_1)
	s_and_b32 exec_lo, exec_lo, s3
	s_cbranch_execnz .LBB2_172
	s_branch .LBB2_173
.LBB2_193:                              ;   in Loop: Header=BB2_34 Depth=3
	s_mov_b32 s3, exec_lo
                                        ; implicit-def: $vgpr2_vgpr3
	v_cmpx_lt_i16_e32 0x53, v4
	s_xor_b32 s3, exec_lo, s3
	s_cbranch_execz .LBB2_197
; %bb.194:                              ;   in Loop: Header=BB2_34 Depth=3
	s_mov_b32 s4, exec_lo
                                        ; implicit-def: $vgpr2_vgpr3
	v_cmpx_eq_u16_e32 0x54, v4
; %bb.195:                              ;   in Loop: Header=BB2_34 Depth=3
	v_add_co_u32 v2, vcc_lo, v0, 28
	s_mov_b32 s2, exec_lo
	v_add_co_ci_u32_e32 v3, vcc_lo, 0, v1, vcc_lo
; %bb.196:                              ;   in Loop: Header=BB2_34 Depth=3
	s_or_b32 exec_lo, exec_lo, s4
	s_delay_alu instid0(SALU_CYCLE_1)
	s_and_b32 s2, s2, exec_lo
                                        ; implicit-def: $vgpr4
                                        ; implicit-def: $vgpr0
                                        ; implicit-def: $vgpr1
.LBB2_197:                              ;   in Loop: Header=BB2_34 Depth=3
	s_and_not1_saveexec_b32 s3, s3
	s_cbranch_execz .LBB2_201
; %bb.198:                              ;   in Loop: Header=BB2_34 Depth=3
	s_mov_b32 s4, s2
	s_mov_b32 s5, exec_lo
                                        ; implicit-def: $vgpr2_vgpr3
	v_cmpx_eq_u16_e32 0x47, v4
; %bb.199:                              ;   in Loop: Header=BB2_34 Depth=3
	v_add_co_u32 v2, vcc_lo, v0, 24
	v_add_co_ci_u32_e32 v3, vcc_lo, 0, v1, vcc_lo
	s_or_b32 s4, s2, exec_lo
; %bb.200:                              ;   in Loop: Header=BB2_34 Depth=3
	s_or_b32 exec_lo, exec_lo, s5
	s_delay_alu instid0(SALU_CYCLE_1) | instskip(SKIP_1) | instid1(SALU_CYCLE_1)
	s_and_not1_b32 s2, s2, exec_lo
	s_and_b32 s4, s4, exec_lo
	s_or_b32 s2, s2, s4
.LBB2_201:                              ;   in Loop: Header=BB2_34 Depth=3
	s_or_b32 exec_lo, exec_lo, s3
	s_delay_alu instid0(SALU_CYCLE_1)
	s_and_b32 s2, s2, exec_lo
                                        ; implicit-def: $vgpr0
                                        ; implicit-def: $vgpr1
                                        ; implicit-def: $vgpr4
	s_and_not1_saveexec_b32 s3, s0
	s_cbranch_execz .LBB2_176
.LBB2_202:                              ;   in Loop: Header=BB2_34 Depth=3
	s_mov_b32 s4, s2
	s_mov_b32 s0, exec_lo
                                        ; implicit-def: $vgpr2_vgpr3
	v_cmpx_lt_i16_e32 0x42, v4
	s_xor_b32 s0, exec_lo, s0
	s_cbranch_execz .LBB2_206
; %bb.203:                              ;   in Loop: Header=BB2_34 Depth=3
	s_mov_b32 s4, s2
	s_mov_b32 s5, exec_lo
                                        ; implicit-def: $vgpr2_vgpr3
	v_cmpx_eq_u16_e32 0x43, v4
; %bb.204:                              ;   in Loop: Header=BB2_34 Depth=3
	v_add_co_u32 v2, vcc_lo, v0, 20
	v_add_co_ci_u32_e32 v3, vcc_lo, 0, v1, vcc_lo
	s_or_b32 s4, s2, exec_lo
; %bb.205:                              ;   in Loop: Header=BB2_34 Depth=3
	s_or_b32 exec_lo, exec_lo, s5
	s_delay_alu instid0(SALU_CYCLE_1) | instskip(SKIP_1) | instid1(SALU_CYCLE_1)
	s_and_not1_b32 s5, s2, exec_lo
	s_and_b32 s4, s4, exec_lo
                                        ; implicit-def: $vgpr0
                                        ; implicit-def: $vgpr1
                                        ; implicit-def: $vgpr4
	s_or_b32 s4, s5, s4
.LBB2_206:                              ;   in Loop: Header=BB2_34 Depth=3
	s_and_not1_saveexec_b32 s5, s0
; %bb.207:                              ;   in Loop: Header=BB2_34 Depth=3
	v_cmp_eq_u16_e32 vcc_lo, 0x41, v4
	v_add_co_u32 v2, s0, v0, 16
	s_delay_alu instid0(VALU_DEP_1) | instskip(SKIP_2) | instid1(SALU_CYCLE_1)
	v_add_co_ci_u32_e64 v3, s0, 0, v1, s0
	s_and_not1_b32 s0, s4, exec_lo
	s_and_b32 s4, vcc_lo, exec_lo
	s_or_b32 s4, s0, s4
; %bb.208:                              ;   in Loop: Header=BB2_34 Depth=3
	s_or_b32 exec_lo, exec_lo, s5
	s_delay_alu instid0(SALU_CYCLE_1) | instskip(SKIP_1) | instid1(SALU_CYCLE_1)
	s_and_not1_b32 s0, s2, exec_lo
	s_and_b32 s2, s4, exec_lo
	s_or_b32 s2, s0, s2
	s_or_b32 exec_lo, exec_lo, s3
	s_delay_alu instid0(SALU_CYCLE_1)
	s_and_b32 exec_lo, exec_lo, s2
	s_cbranch_execz .LBB2_33
.LBB2_209:                              ;   in Loop: Header=BB2_34 Depth=3
	flat_atomic_add_u32 v[2:3], v55
	s_branch .LBB2_33
.LBB2_210:                              ;   in Loop: Header=BB2_13 Depth=1
	s_or_b32 exec_lo, exec_lo, s50
; %bb.211:                              ;   in Loop: Header=BB2_13 Depth=1
	s_and_saveexec_b32 s14, s29
	s_cbranch_execz .LBB2_558
; %bb.212:                              ;   in Loop: Header=BB2_13 Depth=1
	v_mov_b32_e32 v26, v70
	s_mov_b32 s15, 0
	s_branch .LBB2_214
.LBB2_213:                              ;   in Loop: Header=BB2_214 Depth=2
	s_or_b32 exec_lo, exec_lo, s16
	v_add_nc_u32_e32 v26, 64, v26
	s_delay_alu instid0(VALU_DEP_1) | instskip(SKIP_1) | instid1(SALU_CYCLE_1)
	v_cmp_ge_u32_e32 vcc_lo, v26, v45
	s_or_b32 s15, vcc_lo, s15
	s_and_not1_b32 exec_lo, exec_lo, s15
	s_cbranch_execz .LBB2_558
.LBB2_214:                              ;   Parent Loop BB2_13 Depth=1
                                        ; =>  This Loop Header: Depth=2
                                        ;       Child Loop BB2_323 Depth 3
                                        ;       Child Loop BB2_331 Depth 3
	;; [unrolled: 1-line block ×9, first 2 shown]
                                        ;         Child Loop BB2_424 Depth 4
                                        ;         Child Loop BB2_431 Depth 4
	;; [unrolled: 1-line block ×11, first 2 shown]
	s_delay_alu instid0(VALU_DEP_1)
	v_mad_u64_u32 v[22:23], null, v26, 56, v[43:44]
	s_mov_b32 s16, exec_lo
	global_load_b32 v0, v[22:23], off offset:8
	s_waitcnt vmcnt(0)
	v_cmpx_ne_u32_e32 -1, v0
	s_cbranch_execz .LBB2_213
; %bb.215:                              ;   in Loop: Header=BB2_214 Depth=2
	s_clause 0x1
	global_load_b128 v[0:3], v[22:23], off offset:32
	global_load_b128 v[4:7], v[22:23], off offset:16
	s_mov_b32 s2, exec_lo
	s_waitcnt vmcnt(0)
	v_dual_mov_b32 v9, v3 :: v_dual_mov_b32 v14, v4
	v_dual_mov_b32 v11, v2 :: v_dual_mov_b32 v12, v5
	v_dual_mov_b32 v13, v1 :: v_dual_mov_b32 v10, v6
	v_mov_b32_e32 v18, v0
	v_dual_mov_b32 v15, v0 :: v_dual_mov_b32 v8, v7
	s_clause 0x7
	scratch_store_b8 off, v92, off offset:16
	scratch_store_b64 off, v[14:15], off offset:20
	scratch_store_b8 off, v93, off offset:32
	scratch_store_b64 off, v[12:13], off offset:36
	;; [unrolled: 2-line block ×4, first 2 shown]
	v_cmpx_lt_u32_e32 1, v0
	s_cbranch_execz .LBB2_229
; %bb.216:                              ;   in Loop: Header=BB2_214 Depth=2
	v_cvt_f64_u32_e32 v[16:17], v0
	v_mov_b32_e32 v18, 2
	s_mov_b32 s3, exec_lo
	s_delay_alu instid0(VALU_DEP_2)
	v_cmpx_ngt_f64_e32 v[72:73], v[16:17]
	s_cbranch_execz .LBB2_228
; %bb.217:                              ;   in Loop: Header=BB2_214 Depth=2
	v_cvt_f64_u32_e32 v[14:15], v4
	v_cmp_ngt_f64_e32 vcc_lo, v[74:75], v[16:17]
	v_cmp_nle_f64_e64 s0, v[72:73], v[16:17]
	v_mov_b32_e32 v18, 3
	s_delay_alu instid0(VALU_DEP_4) | instskip(NEXT) | instid1(VALU_DEP_3)
	v_cmp_ngt_f64_e64 s1, v[72:73], v[14:15]
	s_or_b32 s0, vcc_lo, s0
	s_delay_alu instid0(VALU_DEP_1) | instid1(SALU_CYCLE_1)
	s_or_b32 s4, s0, s1
	s_delay_alu instid0(SALU_CYCLE_1)
	s_and_saveexec_b32 s1, s4
	s_cbranch_execz .LBB2_227
; %bb.218:                              ;   in Loop: Header=BB2_214 Depth=2
	v_cmp_nle_f64_e32 vcc_lo, v[72:73], v[14:15]
	v_mov_b32_e32 v18, 4
	s_or_b32 s0, s0, vcc_lo
	s_delay_alu instid0(SALU_CYCLE_1)
	s_and_saveexec_b32 s4, s0
	s_cbranch_execz .LBB2_226
; %bb.219:                              ;   in Loop: Header=BB2_214 Depth=2
	v_cmp_nle_f64_e64 s6, v[74:75], v[16:17]
	v_cmp_ngt_f64_e64 s0, v[72:73], v[14:15]
	v_cmp_le_f64_e32 vcc_lo, v[74:75], v[16:17]
	v_mov_b32_e32 v18, 5
	s_delay_alu instid0(VALU_DEP_3) | instskip(NEXT) | instid1(SALU_CYCLE_1)
	s_or_b32 s0, s6, s0
	s_and_saveexec_b32 s5, s0
	s_cbranch_execz .LBB2_225
; %bb.220:                              ;   in Loop: Header=BB2_214 Depth=2
                                        ; implicit-def: $sgpr0
	s_and_saveexec_b32 s7, vcc_lo
; %bb.221:                              ;   in Loop: Header=BB2_214 Depth=2
	v_cmp_nlt_f64_e32 vcc_lo, v[72:73], v[14:15]
	v_cmp_ngt_f64_e64 s0, v[74:75], v[14:15]
	s_and_not1_b32 s6, s6, exec_lo
	s_delay_alu instid0(VALU_DEP_1) | instskip(NEXT) | instid1(SALU_CYCLE_1)
	s_or_b32 s0, vcc_lo, s0
	s_and_b32 s8, s0, exec_lo
	s_mov_b32 s0, 6
	s_or_b32 s6, s6, s8
; %bb.222:                              ;   in Loop: Header=BB2_214 Depth=2
	s_or_b32 exec_lo, exec_lo, s7
	v_mov_b32_e32 v18, s0
	s_and_saveexec_b32 s0, s6
; %bb.223:                              ;   in Loop: Header=BB2_214 Depth=2
	v_mov_b32_e32 v18, 7
; %bb.224:                              ;   in Loop: Header=BB2_214 Depth=2
	s_or_b32 exec_lo, exec_lo, s0
.LBB2_225:                              ;   in Loop: Header=BB2_214 Depth=2
	s_delay_alu instid0(SALU_CYCLE_1)
	s_or_b32 exec_lo, exec_lo, s5
.LBB2_226:                              ;   in Loop: Header=BB2_214 Depth=2
	s_delay_alu instid0(SALU_CYCLE_1)
	s_or_b32 exec_lo, exec_lo, s4
.LBB2_227:                              ;   in Loop: Header=BB2_214 Depth=2
	s_delay_alu instid0(SALU_CYCLE_1)
	s_or_b32 exec_lo, exec_lo, s1
.LBB2_228:                              ;   in Loop: Header=BB2_214 Depth=2
	s_delay_alu instid0(SALU_CYCLE_1)
	s_or_b32 exec_lo, exec_lo, s3
.LBB2_229:                              ;   in Loop: Header=BB2_214 Depth=2
	s_delay_alu instid0(SALU_CYCLE_1) | instskip(NEXT) | instid1(SALU_CYCLE_1)
	s_or_b32 exec_lo, exec_lo, s2
	s_mov_b32 s2, exec_lo
	scratch_store_b32 off, v18, off offset:28
	v_cmpx_lt_u32_e32 1, v1
	s_cbranch_execz .LBB2_243
; %bb.230:                              ;   in Loop: Header=BB2_214 Depth=2
	v_cvt_f64_u32_e32 v[16:17], v1
	v_mov_b32_e32 v13, 2
	s_mov_b32 s3, exec_lo
	s_delay_alu instid0(VALU_DEP_2)
	v_cmpx_ngt_f64_e32 v[72:73], v[16:17]
	s_cbranch_execz .LBB2_242
; %bb.231:                              ;   in Loop: Header=BB2_214 Depth=2
	v_cvt_f64_u32_e32 v[14:15], v5
	v_cmp_ngt_f64_e32 vcc_lo, v[74:75], v[16:17]
	v_cmp_nle_f64_e64 s0, v[72:73], v[16:17]
	v_mov_b32_e32 v13, 3
	s_delay_alu instid0(VALU_DEP_4) | instskip(NEXT) | instid1(VALU_DEP_3)
	v_cmp_ngt_f64_e64 s1, v[72:73], v[14:15]
	s_or_b32 s0, vcc_lo, s0
	s_delay_alu instid0(VALU_DEP_1) | instid1(SALU_CYCLE_1)
	s_or_b32 s4, s0, s1
	s_delay_alu instid0(SALU_CYCLE_1)
	s_and_saveexec_b32 s1, s4
	s_cbranch_execz .LBB2_241
; %bb.232:                              ;   in Loop: Header=BB2_214 Depth=2
	v_cmp_nle_f64_e32 vcc_lo, v[72:73], v[14:15]
	v_mov_b32_e32 v13, 4
	s_or_b32 s0, s0, vcc_lo
	s_delay_alu instid0(SALU_CYCLE_1)
	s_and_saveexec_b32 s4, s0
	s_cbranch_execz .LBB2_240
; %bb.233:                              ;   in Loop: Header=BB2_214 Depth=2
	v_cmp_nle_f64_e64 s6, v[74:75], v[16:17]
	v_cmp_ngt_f64_e64 s0, v[72:73], v[14:15]
	v_cmp_le_f64_e32 vcc_lo, v[74:75], v[16:17]
	v_mov_b32_e32 v13, 5
	s_delay_alu instid0(VALU_DEP_3) | instskip(NEXT) | instid1(SALU_CYCLE_1)
	s_or_b32 s0, s6, s0
	s_and_saveexec_b32 s5, s0
	s_cbranch_execz .LBB2_239
; %bb.234:                              ;   in Loop: Header=BB2_214 Depth=2
                                        ; implicit-def: $sgpr0
	s_and_saveexec_b32 s7, vcc_lo
; %bb.235:                              ;   in Loop: Header=BB2_214 Depth=2
	v_cmp_nlt_f64_e32 vcc_lo, v[72:73], v[14:15]
	v_cmp_ngt_f64_e64 s0, v[74:75], v[14:15]
	s_and_not1_b32 s6, s6, exec_lo
	s_delay_alu instid0(VALU_DEP_1) | instskip(NEXT) | instid1(SALU_CYCLE_1)
	s_or_b32 s0, vcc_lo, s0
	s_and_b32 s8, s0, exec_lo
	s_mov_b32 s0, 6
	s_or_b32 s6, s6, s8
; %bb.236:                              ;   in Loop: Header=BB2_214 Depth=2
	s_or_b32 exec_lo, exec_lo, s7
	v_mov_b32_e32 v13, s0
	s_and_saveexec_b32 s0, s6
; %bb.237:                              ;   in Loop: Header=BB2_214 Depth=2
	v_mov_b32_e32 v13, 7
; %bb.238:                              ;   in Loop: Header=BB2_214 Depth=2
	s_or_b32 exec_lo, exec_lo, s0
.LBB2_239:                              ;   in Loop: Header=BB2_214 Depth=2
	s_delay_alu instid0(SALU_CYCLE_1)
	s_or_b32 exec_lo, exec_lo, s5
.LBB2_240:                              ;   in Loop: Header=BB2_214 Depth=2
	s_delay_alu instid0(SALU_CYCLE_1)
	s_or_b32 exec_lo, exec_lo, s4
.LBB2_241:                              ;   in Loop: Header=BB2_214 Depth=2
	s_delay_alu instid0(SALU_CYCLE_1)
	s_or_b32 exec_lo, exec_lo, s1
.LBB2_242:                              ;   in Loop: Header=BB2_214 Depth=2
	s_delay_alu instid0(SALU_CYCLE_1)
	s_or_b32 exec_lo, exec_lo, s3
.LBB2_243:                              ;   in Loop: Header=BB2_214 Depth=2
	s_delay_alu instid0(SALU_CYCLE_1) | instskip(NEXT) | instid1(SALU_CYCLE_1)
	s_or_b32 exec_lo, exec_lo, s2
	s_mov_b32 s2, exec_lo
	scratch_store_b32 off, v13, off offset:44
	v_cmpx_lt_u32_e32 1, v2
	s_cbranch_execz .LBB2_257
; %bb.244:                              ;   in Loop: Header=BB2_214 Depth=2
	v_cvt_f64_u32_e32 v[16:17], v2
	v_mov_b32_e32 v11, 2
	s_mov_b32 s3, exec_lo
	s_delay_alu instid0(VALU_DEP_2)
	v_cmpx_ngt_f64_e32 v[72:73], v[16:17]
	s_cbranch_execz .LBB2_256
; %bb.245:                              ;   in Loop: Header=BB2_214 Depth=2
	v_cvt_f64_u32_e32 v[14:15], v6
	v_cmp_ngt_f64_e32 vcc_lo, v[74:75], v[16:17]
	v_cmp_nle_f64_e64 s0, v[72:73], v[16:17]
	v_mov_b32_e32 v11, 3
	s_delay_alu instid0(VALU_DEP_4) | instskip(NEXT) | instid1(VALU_DEP_3)
	v_cmp_ngt_f64_e64 s1, v[72:73], v[14:15]
	s_or_b32 s0, vcc_lo, s0
	s_delay_alu instid0(VALU_DEP_1) | instid1(SALU_CYCLE_1)
	s_or_b32 s4, s0, s1
	s_delay_alu instid0(SALU_CYCLE_1)
	s_and_saveexec_b32 s1, s4
	s_cbranch_execz .LBB2_255
; %bb.246:                              ;   in Loop: Header=BB2_214 Depth=2
	v_cmp_nle_f64_e32 vcc_lo, v[72:73], v[14:15]
	v_mov_b32_e32 v11, 4
	s_or_b32 s0, s0, vcc_lo
	s_delay_alu instid0(SALU_CYCLE_1)
	s_and_saveexec_b32 s4, s0
	s_cbranch_execz .LBB2_254
; %bb.247:                              ;   in Loop: Header=BB2_214 Depth=2
	v_cmp_nle_f64_e64 s6, v[74:75], v[16:17]
	v_cmp_ngt_f64_e64 s0, v[72:73], v[14:15]
	v_cmp_le_f64_e32 vcc_lo, v[74:75], v[16:17]
	v_mov_b32_e32 v11, 5
	s_delay_alu instid0(VALU_DEP_3) | instskip(NEXT) | instid1(SALU_CYCLE_1)
	s_or_b32 s0, s6, s0
	s_and_saveexec_b32 s5, s0
	s_cbranch_execz .LBB2_253
; %bb.248:                              ;   in Loop: Header=BB2_214 Depth=2
                                        ; implicit-def: $sgpr0
	s_and_saveexec_b32 s7, vcc_lo
; %bb.249:                              ;   in Loop: Header=BB2_214 Depth=2
	v_cmp_nlt_f64_e32 vcc_lo, v[72:73], v[14:15]
	v_cmp_ngt_f64_e64 s0, v[74:75], v[14:15]
	s_and_not1_b32 s6, s6, exec_lo
	s_delay_alu instid0(VALU_DEP_1) | instskip(NEXT) | instid1(SALU_CYCLE_1)
	s_or_b32 s0, vcc_lo, s0
	s_and_b32 s8, s0, exec_lo
	s_mov_b32 s0, 6
	s_or_b32 s6, s6, s8
; %bb.250:                              ;   in Loop: Header=BB2_214 Depth=2
	s_or_b32 exec_lo, exec_lo, s7
	v_mov_b32_e32 v11, s0
	s_and_saveexec_b32 s0, s6
; %bb.251:                              ;   in Loop: Header=BB2_214 Depth=2
	v_mov_b32_e32 v11, 7
; %bb.252:                              ;   in Loop: Header=BB2_214 Depth=2
	s_or_b32 exec_lo, exec_lo, s0
.LBB2_253:                              ;   in Loop: Header=BB2_214 Depth=2
	s_delay_alu instid0(SALU_CYCLE_1)
	s_or_b32 exec_lo, exec_lo, s5
.LBB2_254:                              ;   in Loop: Header=BB2_214 Depth=2
	s_delay_alu instid0(SALU_CYCLE_1)
	s_or_b32 exec_lo, exec_lo, s4
.LBB2_255:                              ;   in Loop: Header=BB2_214 Depth=2
	s_delay_alu instid0(SALU_CYCLE_1)
	s_or_b32 exec_lo, exec_lo, s1
.LBB2_256:                              ;   in Loop: Header=BB2_214 Depth=2
	s_delay_alu instid0(SALU_CYCLE_1)
	s_or_b32 exec_lo, exec_lo, s3
.LBB2_257:                              ;   in Loop: Header=BB2_214 Depth=2
	s_delay_alu instid0(SALU_CYCLE_1) | instskip(NEXT) | instid1(SALU_CYCLE_1)
	s_or_b32 exec_lo, exec_lo, s2
	s_mov_b32 s2, exec_lo
	scratch_store_b32 off, v11, off offset:60
	v_cmpx_lt_u32_e32 1, v3
	s_cbranch_execz .LBB2_271
; %bb.258:                              ;   in Loop: Header=BB2_214 Depth=2
	v_cvt_f64_u32_e32 v[16:17], v3
	v_mov_b32_e32 v9, 2
	s_mov_b32 s3, exec_lo
	s_delay_alu instid0(VALU_DEP_2)
	v_cmpx_ngt_f64_e32 v[72:73], v[16:17]
	s_cbranch_execz .LBB2_270
; %bb.259:                              ;   in Loop: Header=BB2_214 Depth=2
	v_cvt_f64_u32_e32 v[14:15], v7
	v_cmp_ngt_f64_e32 vcc_lo, v[74:75], v[16:17]
	v_cmp_nle_f64_e64 s0, v[72:73], v[16:17]
	v_mov_b32_e32 v9, 3
	s_delay_alu instid0(VALU_DEP_4) | instskip(NEXT) | instid1(VALU_DEP_3)
	v_cmp_ngt_f64_e64 s1, v[72:73], v[14:15]
	s_or_b32 s0, vcc_lo, s0
	s_delay_alu instid0(VALU_DEP_1) | instid1(SALU_CYCLE_1)
	s_or_b32 s4, s0, s1
	s_delay_alu instid0(SALU_CYCLE_1)
	s_and_saveexec_b32 s1, s4
	s_cbranch_execz .LBB2_269
; %bb.260:                              ;   in Loop: Header=BB2_214 Depth=2
	v_cmp_nle_f64_e32 vcc_lo, v[72:73], v[14:15]
	v_mov_b32_e32 v9, 4
	s_or_b32 s0, s0, vcc_lo
	s_delay_alu instid0(SALU_CYCLE_1)
	s_and_saveexec_b32 s4, s0
	s_cbranch_execz .LBB2_268
; %bb.261:                              ;   in Loop: Header=BB2_214 Depth=2
	v_cmp_nle_f64_e64 s6, v[74:75], v[16:17]
	v_cmp_ngt_f64_e64 s0, v[72:73], v[14:15]
	v_cmp_le_f64_e32 vcc_lo, v[74:75], v[16:17]
	v_mov_b32_e32 v9, 5
	s_delay_alu instid0(VALU_DEP_3) | instskip(NEXT) | instid1(SALU_CYCLE_1)
	s_or_b32 s0, s6, s0
	s_and_saveexec_b32 s5, s0
	s_cbranch_execz .LBB2_267
; %bb.262:                              ;   in Loop: Header=BB2_214 Depth=2
                                        ; implicit-def: $sgpr0
	s_and_saveexec_b32 s7, vcc_lo
; %bb.263:                              ;   in Loop: Header=BB2_214 Depth=2
	v_cmp_nlt_f64_e32 vcc_lo, v[72:73], v[14:15]
	v_cmp_ngt_f64_e64 s0, v[74:75], v[14:15]
	s_and_not1_b32 s6, s6, exec_lo
	s_delay_alu instid0(VALU_DEP_1) | instskip(NEXT) | instid1(SALU_CYCLE_1)
	s_or_b32 s0, vcc_lo, s0
	s_and_b32 s8, s0, exec_lo
	s_mov_b32 s0, 6
	s_or_b32 s6, s6, s8
; %bb.264:                              ;   in Loop: Header=BB2_214 Depth=2
	s_or_b32 exec_lo, exec_lo, s7
	v_mov_b32_e32 v9, s0
	s_and_saveexec_b32 s0, s6
; %bb.265:                              ;   in Loop: Header=BB2_214 Depth=2
	v_mov_b32_e32 v9, 7
; %bb.266:                              ;   in Loop: Header=BB2_214 Depth=2
	s_or_b32 exec_lo, exec_lo, s0
.LBB2_267:                              ;   in Loop: Header=BB2_214 Depth=2
	s_delay_alu instid0(SALU_CYCLE_1)
	s_or_b32 exec_lo, exec_lo, s5
.LBB2_268:                              ;   in Loop: Header=BB2_214 Depth=2
	s_delay_alu instid0(SALU_CYCLE_1)
	s_or_b32 exec_lo, exec_lo, s4
.LBB2_269:                              ;   in Loop: Header=BB2_214 Depth=2
	s_delay_alu instid0(SALU_CYCLE_1)
	s_or_b32 exec_lo, exec_lo, s1
.LBB2_270:                              ;   in Loop: Header=BB2_214 Depth=2
	s_delay_alu instid0(SALU_CYCLE_1)
	s_or_b32 exec_lo, exec_lo, s3
.LBB2_271:                              ;   in Loop: Header=BB2_214 Depth=2
	s_delay_alu instid0(SALU_CYCLE_1) | instskip(NEXT) | instid1(SALU_CYCLE_1)
	s_or_b32 exec_lo, exec_lo, s2
	s_mov_b32 s1, exec_lo
	scratch_store_b32 off, v9, off offset:76
                                        ; implicit-def: $sgpr0
	v_cmpx_ne_u32_e64 v18, v13
	s_xor_b32 s1, exec_lo, s1
	s_cbranch_execnz .LBB2_342
; %bb.272:                              ;   in Loop: Header=BB2_214 Depth=2
	s_and_not1_saveexec_b32 s1, s1
	s_cbranch_execnz .LBB2_343
.LBB2_273:                              ;   in Loop: Header=BB2_214 Depth=2
	s_or_b32 exec_lo, exec_lo, s1
	s_and_saveexec_b32 s1, s0
	s_cbranch_execz .LBB2_275
.LBB2_274:                              ;   in Loop: Header=BB2_214 Depth=2
	scratch_load_b128 v[12:15], v84, off
	scratch_load_b128 v[27:30], off, off offset:16
	s_waitcnt vmcnt(1)
	scratch_store_b128 off, v[12:15], off offset:16
	scratch_load_b32 v18, off, off offset:28
	s_waitcnt vmcnt(1)
	scratch_store_b128 v84, v[27:30], off
.LBB2_275:                              ;   in Loop: Header=BB2_214 Depth=2
	s_or_b32 exec_lo, exec_lo, s1
	s_delay_alu instid0(SALU_CYCLE_1)
	s_mov_b32 s1, exec_lo
                                        ; implicit-def: $sgpr0
	s_waitcnt vmcnt(0)
	v_cmpx_ne_u32_e64 v18, v11
	s_xor_b32 s1, exec_lo, s1
	s_cbranch_execnz .LBB2_348
; %bb.276:                              ;   in Loop: Header=BB2_214 Depth=2
	s_and_not1_saveexec_b32 s1, s1
	s_cbranch_execnz .LBB2_349
.LBB2_277:                              ;   in Loop: Header=BB2_214 Depth=2
	s_or_b32 exec_lo, exec_lo, s1
	s_and_saveexec_b32 s1, s0
	s_cbranch_execz .LBB2_279
.LBB2_278:                              ;   in Loop: Header=BB2_214 Depth=2
	scratch_load_b128 v[10:13], v85, off
	scratch_load_b128 v[14:17], off, off offset:16
	s_waitcnt vmcnt(1)
	scratch_store_b128 off, v[10:13], off offset:16
	scratch_load_b32 v18, off, off offset:28
	s_waitcnt vmcnt(1)
	scratch_store_b128 v85, v[14:17], off
.LBB2_279:                              ;   in Loop: Header=BB2_214 Depth=2
	s_or_b32 exec_lo, exec_lo, s1
	s_delay_alu instid0(SALU_CYCLE_1)
	s_mov_b32 s1, exec_lo
                                        ; implicit-def: $sgpr0
	s_waitcnt vmcnt(0)
	v_cmpx_ne_u32_e64 v18, v9
	s_xor_b32 s1, exec_lo, s1
	s_cbranch_execnz .LBB2_354
; %bb.280:                              ;   in Loop: Header=BB2_214 Depth=2
	s_and_not1_saveexec_b32 s1, s1
	s_cbranch_execnz .LBB2_355
.LBB2_281:                              ;   in Loop: Header=BB2_214 Depth=2
	s_or_b32 exec_lo, exec_lo, s1
	s_and_saveexec_b32 s1, s0
	s_cbranch_execz .LBB2_283
.LBB2_282:                              ;   in Loop: Header=BB2_214 Depth=2
	scratch_load_b128 v[0:3], v86, off
	scratch_load_b128 v[4:7], off, off offset:16
	s_waitcnt vmcnt(1)
	scratch_store_b128 off, v[0:3], off offset:16
	scratch_load_b32 v18, off, off offset:28
	s_waitcnt vmcnt(1)
	scratch_store_b128 v86, v[4:7], off
.LBB2_283:                              ;   in Loop: Header=BB2_214 Depth=2
	s_or_b32 exec_lo, exec_lo, s1
	scratch_load_b32 v0, off, off offset:44
	s_mov_b32 s1, exec_lo
                                        ; implicit-def: $sgpr0
	s_waitcnt vmcnt(0)
	v_cmpx_ne_u32_e64 v0, v18
	s_xor_b32 s1, exec_lo, s1
	s_cbranch_execnz .LBB2_360
; %bb.284:                              ;   in Loop: Header=BB2_214 Depth=2
	s_and_not1_saveexec_b32 s1, s1
	s_cbranch_execnz .LBB2_361
.LBB2_285:                              ;   in Loop: Header=BB2_214 Depth=2
	s_or_b32 exec_lo, exec_lo, s1
	s_and_saveexec_b32 s1, s0
	s_cbranch_execz .LBB2_287
.LBB2_286:                              ;   in Loop: Header=BB2_214 Depth=2
	scratch_load_b128 v[0:3], off, off offset:16
	scratch_load_b128 v[4:7], v84, off
	s_waitcnt vmcnt(1)
	scratch_store_b128 v84, v[0:3], off
	scratch_load_b32 v0, off, off offset:44
	s_waitcnt vmcnt(1)
	scratch_store_b128 off, v[4:7], off offset:16
.LBB2_287:                              ;   in Loop: Header=BB2_214 Depth=2
	s_or_b32 exec_lo, exec_lo, s1
	scratch_load_b32 v1, off, off offset:60
	s_mov_b32 s1, exec_lo
                                        ; implicit-def: $sgpr0
	s_waitcnt vmcnt(0)
	v_cmpx_ne_u32_e64 v0, v1
	s_xor_b32 s1, exec_lo, s1
	s_cbranch_execnz .LBB2_366
; %bb.288:                              ;   in Loop: Header=BB2_214 Depth=2
	s_and_not1_saveexec_b32 s1, s1
	s_cbranch_execnz .LBB2_367
.LBB2_289:                              ;   in Loop: Header=BB2_214 Depth=2
	s_or_b32 exec_lo, exec_lo, s1
	s_and_saveexec_b32 s1, s0
	s_cbranch_execz .LBB2_291
.LBB2_290:                              ;   in Loop: Header=BB2_214 Depth=2
	s_clause 0x1
	scratch_load_b128 v[0:3], v85, off
	scratch_load_b128 v[4:7], v84, off
	s_waitcnt vmcnt(1)
	scratch_store_b128 v84, v[0:3], off
	s_waitcnt vmcnt(0)
	scratch_store_b128 v85, v[4:7], off
	scratch_load_b32 v0, off, off offset:44
.LBB2_291:                              ;   in Loop: Header=BB2_214 Depth=2
	s_or_b32 exec_lo, exec_lo, s1
	scratch_load_b32 v1, off, off offset:76
	s_mov_b32 s1, exec_lo
                                        ; implicit-def: $sgpr0
	s_waitcnt vmcnt(0)
	v_cmpx_ne_u32_e64 v0, v1
	s_xor_b32 s1, exec_lo, s1
	s_cbranch_execnz .LBB2_372
; %bb.292:                              ;   in Loop: Header=BB2_214 Depth=2
	s_and_not1_saveexec_b32 s1, s1
	s_cbranch_execnz .LBB2_373
.LBB2_293:                              ;   in Loop: Header=BB2_214 Depth=2
	s_or_b32 exec_lo, exec_lo, s1
	s_and_saveexec_b32 s1, s0
	s_cbranch_execz .LBB2_295
.LBB2_294:                              ;   in Loop: Header=BB2_214 Depth=2
	s_clause 0x1
	scratch_load_b128 v[0:3], v86, off
	scratch_load_b128 v[4:7], v84, off
	s_waitcnt vmcnt(1)
	scratch_store_b128 v84, v[0:3], off
	s_waitcnt vmcnt(0)
	scratch_store_b128 v86, v[4:7], off
.LBB2_295:                              ;   in Loop: Header=BB2_214 Depth=2
	s_or_b32 exec_lo, exec_lo, s1
	s_clause 0x1
	scratch_load_b32 v1, off, off offset:60
	scratch_load_b32 v0, off, off offset:28
	s_mov_b32 s1, exec_lo
                                        ; implicit-def: $sgpr0
	s_waitcnt vmcnt(0)
	v_cmpx_ne_u32_e64 v1, v0
	s_xor_b32 s1, exec_lo, s1
	s_cbranch_execnz .LBB2_378
; %bb.296:                              ;   in Loop: Header=BB2_214 Depth=2
	s_and_not1_saveexec_b32 s1, s1
	s_cbranch_execnz .LBB2_379
.LBB2_297:                              ;   in Loop: Header=BB2_214 Depth=2
	s_or_b32 exec_lo, exec_lo, s1
	s_and_saveexec_b32 s1, s0
	s_cbranch_execz .LBB2_299
.LBB2_298:                              ;   in Loop: Header=BB2_214 Depth=2
	scratch_load_b128 v[0:3], off, off offset:16
	scratch_load_b128 v[4:7], v85, off
	s_waitcnt vmcnt(1)
	scratch_store_b128 v85, v[0:3], off
	scratch_load_b32 v1, off, off offset:60
	s_waitcnt vmcnt(1)
	scratch_store_b128 off, v[4:7], off offset:16
.LBB2_299:                              ;   in Loop: Header=BB2_214 Depth=2
	s_or_b32 exec_lo, exec_lo, s1
	scratch_load_b32 v0, off, off offset:44
	s_mov_b32 s1, exec_lo
                                        ; implicit-def: $sgpr0
	s_waitcnt vmcnt(0)
	v_cmpx_ne_u32_e64 v1, v0
	s_xor_b32 s1, exec_lo, s1
	s_cbranch_execnz .LBB2_384
; %bb.300:                              ;   in Loop: Header=BB2_214 Depth=2
	s_and_not1_saveexec_b32 s1, s1
	s_cbranch_execnz .LBB2_385
.LBB2_301:                              ;   in Loop: Header=BB2_214 Depth=2
	s_or_b32 exec_lo, exec_lo, s1
	s_and_saveexec_b32 s1, s0
	s_cbranch_execz .LBB2_303
.LBB2_302:                              ;   in Loop: Header=BB2_214 Depth=2
	s_clause 0x1
	scratch_load_b128 v[0:3], v84, off
	scratch_load_b128 v[4:7], v85, off
	s_waitcnt vmcnt(1)
	scratch_store_b128 v85, v[0:3], off
	s_waitcnt vmcnt(0)
	scratch_store_b128 v84, v[4:7], off
	scratch_load_b32 v1, off, off offset:60
.LBB2_303:                              ;   in Loop: Header=BB2_214 Depth=2
	s_or_b32 exec_lo, exec_lo, s1
	scratch_load_b32 v0, off, off offset:76
	s_mov_b32 s1, exec_lo
                                        ; implicit-def: $sgpr0
	s_waitcnt vmcnt(0)
	v_cmpx_ne_u32_e64 v1, v0
	s_xor_b32 s1, exec_lo, s1
	s_cbranch_execnz .LBB2_390
; %bb.304:                              ;   in Loop: Header=BB2_214 Depth=2
	s_and_not1_saveexec_b32 s1, s1
	s_cbranch_execnz .LBB2_391
.LBB2_305:                              ;   in Loop: Header=BB2_214 Depth=2
	s_or_b32 exec_lo, exec_lo, s1
	s_and_saveexec_b32 s1, s0
	s_cbranch_execz .LBB2_307
.LBB2_306:                              ;   in Loop: Header=BB2_214 Depth=2
	s_clause 0x1
	scratch_load_b128 v[0:3], v85, off
	scratch_load_b128 v[4:7], v86, off
	s_waitcnt vmcnt(1)
	scratch_store_b128 v86, v[0:3], off
	s_waitcnt vmcnt(0)
	scratch_store_b128 v85, v[4:7], off
	scratch_load_b32 v0, off, off offset:76
.LBB2_307:                              ;   in Loop: Header=BB2_214 Depth=2
	s_or_b32 exec_lo, exec_lo, s1
	scratch_load_b32 v1, off, off offset:28
	s_mov_b32 s1, exec_lo
                                        ; implicit-def: $sgpr0
	s_waitcnt vmcnt(0)
	v_cmpx_ne_u32_e64 v0, v1
	s_xor_b32 s1, exec_lo, s1
	s_cbranch_execnz .LBB2_396
; %bb.308:                              ;   in Loop: Header=BB2_214 Depth=2
	s_and_not1_saveexec_b32 s1, s1
	s_cbranch_execnz .LBB2_397
.LBB2_309:                              ;   in Loop: Header=BB2_214 Depth=2
	s_or_b32 exec_lo, exec_lo, s1
	s_and_saveexec_b32 s1, s0
	s_cbranch_execz .LBB2_311
.LBB2_310:                              ;   in Loop: Header=BB2_214 Depth=2
	scratch_load_b128 v[0:3], off, off offset:16
	scratch_load_b128 v[4:7], v86, off
	s_waitcnt vmcnt(1)
	scratch_store_b128 v86, v[0:3], off
	scratch_load_b32 v0, off, off offset:76
	s_waitcnt vmcnt(1)
	scratch_store_b128 off, v[4:7], off offset:16
.LBB2_311:                              ;   in Loop: Header=BB2_214 Depth=2
	s_or_b32 exec_lo, exec_lo, s1
	scratch_load_b32 v1, off, off offset:44
	s_mov_b32 s1, exec_lo
                                        ; implicit-def: $sgpr0
	s_waitcnt vmcnt(0)
	v_cmpx_ne_u32_e64 v0, v1
	s_xor_b32 s1, exec_lo, s1
	s_cbranch_execnz .LBB2_402
; %bb.312:                              ;   in Loop: Header=BB2_214 Depth=2
	s_and_not1_saveexec_b32 s1, s1
	s_cbranch_execnz .LBB2_403
.LBB2_313:                              ;   in Loop: Header=BB2_214 Depth=2
	s_or_b32 exec_lo, exec_lo, s1
	s_and_saveexec_b32 s1, s0
	s_cbranch_execz .LBB2_315
.LBB2_314:                              ;   in Loop: Header=BB2_214 Depth=2
	s_clause 0x1
	scratch_load_b128 v[0:3], v84, off
	scratch_load_b128 v[4:7], v86, off
	s_waitcnt vmcnt(1)
	scratch_store_b128 v86, v[0:3], off
	s_waitcnt vmcnt(0)
	scratch_store_b128 v84, v[4:7], off
	scratch_load_b32 v0, off, off offset:76
.LBB2_315:                              ;   in Loop: Header=BB2_214 Depth=2
	s_or_b32 exec_lo, exec_lo, s1
	scratch_load_b32 v1, off, off offset:60
	s_mov_b32 s1, exec_lo
                                        ; implicit-def: $sgpr0
	s_waitcnt vmcnt(0)
	v_cmpx_ne_u32_e64 v0, v1
	s_xor_b32 s1, exec_lo, s1
	s_cbranch_execnz .LBB2_408
; %bb.316:                              ;   in Loop: Header=BB2_214 Depth=2
	s_and_not1_saveexec_b32 s1, s1
	s_cbranch_execnz .LBB2_409
.LBB2_317:                              ;   in Loop: Header=BB2_214 Depth=2
	s_or_b32 exec_lo, exec_lo, s1
	s_and_saveexec_b32 s1, s0
	s_cbranch_execz .LBB2_319
.LBB2_318:                              ;   in Loop: Header=BB2_214 Depth=2
	s_clause 0x1
	scratch_load_b128 v[0:3], v85, off
	scratch_load_b128 v[4:7], v86, off
	s_waitcnt vmcnt(1)
	scratch_store_b128 v86, v[0:3], off
	s_waitcnt vmcnt(0)
	scratch_store_b128 v85, v[4:7], off
.LBB2_319:                              ;   in Loop: Header=BB2_214 Depth=2
	s_or_b32 exec_lo, exec_lo, s1
	s_clause 0x1
	scratch_load_b32 v28, off, off offset:28
	scratch_load_b32 v27, off, off offset:44
	s_mov_b32 s17, exec_lo
	s_waitcnt vmcnt(0)
	v_cmpx_lt_i32_e64 v28, v27
	s_cbranch_execz .LBB2_524
; %bb.320:                              ;   in Loop: Header=BB2_214 Depth=2
	s_load_b64 s[2:3], s[52:53], 0x50
	v_readfirstlane_b32 s0, v91
	v_mov_b32_e32 v4, 0
	v_mov_b32_e32 v5, 0
	s_delay_alu instid0(VALU_DEP_3) | instskip(NEXT) | instid1(VALU_DEP_1)
	v_cmp_eq_u32_e64 s0, s0, v91
	s_and_saveexec_b32 s1, s0
	s_cbranch_execz .LBB2_326
; %bb.321:                              ;   in Loop: Header=BB2_214 Depth=2
	s_waitcnt lgkmcnt(0)
	global_load_b64 v[2:3], v53, s[2:3] offset:24 glc
	s_waitcnt vmcnt(0)
	buffer_gl1_inv
	buffer_gl0_inv
	s_clause 0x1
	global_load_b64 v[0:1], v53, s[2:3] offset:40
	global_load_b64 v[4:5], v53, s[2:3]
	s_mov_b32 s4, exec_lo
	s_waitcnt vmcnt(1)
	v_and_b32_e32 v1, v1, v3
	v_and_b32_e32 v0, v0, v2
	s_delay_alu instid0(VALU_DEP_2) | instskip(NEXT) | instid1(VALU_DEP_2)
	v_mul_lo_u32 v1, v1, 24
	v_mul_hi_u32 v6, v0, 24
	v_mul_lo_u32 v0, v0, 24
	s_delay_alu instid0(VALU_DEP_2) | instskip(SKIP_1) | instid1(VALU_DEP_2)
	v_add_nc_u32_e32 v1, v6, v1
	s_waitcnt vmcnt(0)
	v_add_co_u32 v0, vcc_lo, v4, v0
	s_delay_alu instid0(VALU_DEP_2)
	v_add_co_ci_u32_e32 v1, vcc_lo, v5, v1, vcc_lo
	global_load_b64 v[0:1], v[0:1], off glc
	s_waitcnt vmcnt(0)
	global_atomic_cmpswap_b64 v[4:5], v53, v[0:3], s[2:3] offset:24 glc
	s_waitcnt vmcnt(0)
	buffer_gl1_inv
	buffer_gl0_inv
	v_cmpx_ne_u64_e64 v[4:5], v[2:3]
	s_cbranch_execz .LBB2_325
; %bb.322:                              ;   in Loop: Header=BB2_214 Depth=2
	s_mov_b32 s5, 0
	.p2align	6
.LBB2_323:                              ;   Parent Loop BB2_13 Depth=1
                                        ;     Parent Loop BB2_214 Depth=2
                                        ; =>    This Inner Loop Header: Depth=3
	s_sleep 1
	s_clause 0x1
	global_load_b64 v[0:1], v53, s[2:3] offset:40
	global_load_b64 v[6:7], v53, s[2:3]
	v_dual_mov_b32 v2, v4 :: v_dual_mov_b32 v3, v5
	s_waitcnt vmcnt(1)
	s_delay_alu instid0(VALU_DEP_1) | instskip(NEXT) | instid1(VALU_DEP_2)
	v_and_b32_e32 v0, v0, v2
	v_and_b32_e32 v1, v1, v3
	s_waitcnt vmcnt(0)
	s_delay_alu instid0(VALU_DEP_2) | instskip(NEXT) | instid1(VALU_DEP_1)
	v_mad_u64_u32 v[4:5], null, v0, 24, v[6:7]
	v_mov_b32_e32 v0, v5
	s_delay_alu instid0(VALU_DEP_1)
	v_mad_u64_u32 v[5:6], null, v1, 24, v[0:1]
	global_load_b64 v[0:1], v[4:5], off glc
	s_waitcnt vmcnt(0)
	global_atomic_cmpswap_b64 v[4:5], v53, v[0:3], s[2:3] offset:24 glc
	s_waitcnt vmcnt(0)
	buffer_gl1_inv
	buffer_gl0_inv
	v_cmp_eq_u64_e32 vcc_lo, v[4:5], v[2:3]
	s_or_b32 s5, vcc_lo, s5
	s_delay_alu instid0(SALU_CYCLE_1)
	s_and_not1_b32 exec_lo, exec_lo, s5
	s_cbranch_execnz .LBB2_323
; %bb.324:                              ;   in Loop: Header=BB2_214 Depth=2
	s_or_b32 exec_lo, exec_lo, s5
.LBB2_325:                              ;   in Loop: Header=BB2_214 Depth=2
	s_delay_alu instid0(SALU_CYCLE_1)
	s_or_b32 exec_lo, exec_lo, s4
.LBB2_326:                              ;   in Loop: Header=BB2_214 Depth=2
	s_delay_alu instid0(SALU_CYCLE_1)
	s_or_b32 exec_lo, exec_lo, s1
	s_waitcnt lgkmcnt(0)
	s_clause 0x1
	global_load_b64 v[6:7], v53, s[2:3] offset:40
	global_load_b128 v[0:3], v53, s[2:3]
	v_readfirstlane_b32 s4, v4
	v_readfirstlane_b32 s5, v5
	s_mov_b32 s1, exec_lo
	s_waitcnt vmcnt(1)
	v_readfirstlane_b32 s6, v6
	v_readfirstlane_b32 s7, v7
	s_delay_alu instid0(VALU_DEP_1) | instskip(NEXT) | instid1(SALU_CYCLE_1)
	s_and_b64 s[6:7], s[4:5], s[6:7]
	s_mul_i32 s8, s7, 24
	s_mul_hi_u32 s9, s6, 24
	s_mul_i32 s10, s6, 24
	s_add_i32 s9, s9, s8
	s_waitcnt vmcnt(0)
	v_add_co_u32 v4, vcc_lo, v0, s10
	v_add_co_ci_u32_e32 v5, vcc_lo, s9, v1, vcc_lo
	s_and_saveexec_b32 s8, s0
	s_cbranch_execz .LBB2_328
; %bb.327:                              ;   in Loop: Header=BB2_214 Depth=2
	v_mov_b32_e32 v52, s1
	global_store_b128 v[4:5], v[52:55], off offset:8
.LBB2_328:                              ;   in Loop: Header=BB2_214 Depth=2
	s_or_b32 exec_lo, exec_lo, s8
	s_lshl_b64 s[6:7], s[6:7], 12
	s_mov_b32 s37, s36
	v_add_co_u32 v8, vcc_lo, v2, s6
	v_add_co_ci_u32_e32 v9, vcc_lo, s7, v3, vcc_lo
	s_mov_b32 s38, s36
	s_mov_b32 s39, s36
	v_dual_mov_b32 v58, v53 :: v_dual_lshlrev_b32 v29, 6, v91
	v_dual_mov_b32 v57, v53 :: v_dual_mov_b32 v10, s36
	v_dual_mov_b32 v59, v53 :: v_dual_mov_b32 v12, s38
	v_readfirstlane_b32 s6, v8
	v_readfirstlane_b32 s7, v9
	v_mov_b32_e32 v11, s37
	v_mov_b32_e32 v13, s39
	s_clause 0x3
	global_store_b128 v29, v[56:59], s[6:7]
	global_store_b128 v29, v[10:13], s[6:7] offset:16
	global_store_b128 v29, v[10:13], s[6:7] offset:32
	;; [unrolled: 1-line block ×3, first 2 shown]
	s_and_saveexec_b32 s1, s0
	s_cbranch_execz .LBB2_336
; %bb.329:                              ;   in Loop: Header=BB2_214 Depth=2
	s_clause 0x1
	global_load_b64 v[12:13], v53, s[2:3] offset:32 glc
	global_load_b64 v[2:3], v53, s[2:3] offset:40
	s_mov_b32 s6, exec_lo
	v_dual_mov_b32 v10, s4 :: v_dual_mov_b32 v11, s5
	s_waitcnt vmcnt(0)
	v_and_b32_e32 v3, s5, v3
	v_and_b32_e32 v2, s4, v2
	s_delay_alu instid0(VALU_DEP_2) | instskip(NEXT) | instid1(VALU_DEP_2)
	v_mul_lo_u32 v3, v3, 24
	v_mul_hi_u32 v6, v2, 24
	v_mul_lo_u32 v2, v2, 24
	s_delay_alu instid0(VALU_DEP_2) | instskip(NEXT) | instid1(VALU_DEP_2)
	v_add_nc_u32_e32 v3, v6, v3
	v_add_co_u32 v6, vcc_lo, v0, v2
	s_delay_alu instid0(VALU_DEP_2)
	v_add_co_ci_u32_e32 v7, vcc_lo, v1, v3, vcc_lo
	global_store_b64 v[6:7], v[12:13], off
	s_waitcnt_vscnt null, 0x0
	global_atomic_cmpswap_b64 v[2:3], v53, v[10:13], s[2:3] offset:32 glc
	s_waitcnt vmcnt(0)
	v_cmpx_ne_u64_e64 v[2:3], v[12:13]
	s_cbranch_execz .LBB2_332
; %bb.330:                              ;   in Loop: Header=BB2_214 Depth=2
	s_mov_b32 s7, 0
.LBB2_331:                              ;   Parent Loop BB2_13 Depth=1
                                        ;     Parent Loop BB2_214 Depth=2
                                        ; =>    This Inner Loop Header: Depth=3
	v_dual_mov_b32 v0, s4 :: v_dual_mov_b32 v1, s5
	s_sleep 1
	global_store_b64 v[6:7], v[2:3], off
	s_waitcnt_vscnt null, 0x0
	global_atomic_cmpswap_b64 v[0:1], v53, v[0:3], s[2:3] offset:32 glc
	s_waitcnt vmcnt(0)
	v_cmp_eq_u64_e32 vcc_lo, v[0:1], v[2:3]
	v_dual_mov_b32 v3, v1 :: v_dual_mov_b32 v2, v0
	s_or_b32 s7, vcc_lo, s7
	s_delay_alu instid0(SALU_CYCLE_1)
	s_and_not1_b32 exec_lo, exec_lo, s7
	s_cbranch_execnz .LBB2_331
.LBB2_332:                              ;   in Loop: Header=BB2_214 Depth=2
	s_or_b32 exec_lo, exec_lo, s6
	global_load_b64 v[0:1], v53, s[2:3] offset:16
	s_mov_b32 s7, exec_lo
	s_mov_b32 s6, exec_lo
	v_mbcnt_lo_u32_b32 v2, s7, 0
	s_delay_alu instid0(VALU_DEP_1)
	v_cmpx_eq_u32_e32 0, v2
	s_cbranch_execz .LBB2_334
; %bb.333:                              ;   in Loop: Header=BB2_214 Depth=2
	s_bcnt1_i32_b32 s7, s7
	s_delay_alu instid0(SALU_CYCLE_1)
	v_mov_b32_e32 v52, s7
	s_waitcnt vmcnt(0)
	global_atomic_add_u64 v[0:1], v[52:53], off offset:8
.LBB2_334:                              ;   in Loop: Header=BB2_214 Depth=2
	s_or_b32 exec_lo, exec_lo, s6
	s_waitcnt vmcnt(0)
	global_load_b64 v[2:3], v[0:1], off offset:16
	s_waitcnt vmcnt(0)
	v_cmp_eq_u64_e32 vcc_lo, 0, v[2:3]
	s_cbranch_vccnz .LBB2_336
; %bb.335:                              ;   in Loop: Header=BB2_214 Depth=2
	global_load_b32 v52, v[0:1], off offset:24
	s_waitcnt vmcnt(0)
	v_and_b32_e32 v0, 0xffffff, v52
	s_waitcnt_vscnt null, 0x0
	global_store_b64 v[2:3], v[52:53], off
	v_readfirstlane_b32 m0, v0
	s_sendmsg sendmsg(MSG_INTERRUPT)
.LBB2_336:                              ;   in Loop: Header=BB2_214 Depth=2
	s_or_b32 exec_lo, exec_lo, s1
	v_add_co_u32 v0, vcc_lo, v8, v29
	v_add_co_ci_u32_e32 v1, vcc_lo, 0, v9, vcc_lo
	s_branch .LBB2_340
	.p2align	6
.LBB2_337:                              ;   in Loop: Header=BB2_340 Depth=3
	s_or_b32 exec_lo, exec_lo, s1
	s_delay_alu instid0(VALU_DEP_1) | instskip(NEXT) | instid1(VALU_DEP_1)
	v_readfirstlane_b32 s1, v2
	s_cmp_eq_u32 s1, 0
	s_cbranch_scc1 .LBB2_339
; %bb.338:                              ;   in Loop: Header=BB2_340 Depth=3
	s_sleep 1
	s_cbranch_execnz .LBB2_340
	s_branch .LBB2_414
	.p2align	6
.LBB2_339:                              ;   in Loop: Header=BB2_214 Depth=2
	s_branch .LBB2_414
.LBB2_340:                              ;   Parent Loop BB2_13 Depth=1
                                        ;     Parent Loop BB2_214 Depth=2
                                        ; =>    This Inner Loop Header: Depth=3
	v_mov_b32_e32 v2, 1
	s_and_saveexec_b32 s1, s0
	s_cbranch_execz .LBB2_337
; %bb.341:                              ;   in Loop: Header=BB2_340 Depth=3
	global_load_b32 v2, v[4:5], off offset:20 glc
	s_waitcnt vmcnt(0)
	buffer_gl1_inv
	buffer_gl0_inv
	v_and_b32_e32 v2, 1, v2
	s_branch .LBB2_337
.LBB2_342:                              ;   in Loop: Header=BB2_214 Depth=2
	v_cmp_gt_u32_e32 vcc_lo, v18, v13
	s_and_b32 s0, vcc_lo, exec_lo
	s_and_not1_saveexec_b32 s1, s1
	s_cbranch_execz .LBB2_273
.LBB2_343:                              ;   in Loop: Header=BB2_214 Depth=2
	s_mov_b32 s3, exec_lo
                                        ; implicit-def: $sgpr2
	v_cmpx_ne_u32_e64 v4, v5
	s_xor_b32 s3, exec_lo, s3
; %bb.344:                              ;   in Loop: Header=BB2_214 Depth=2
	v_cmp_gt_u32_e32 vcc_lo, v4, v5
	s_and_b32 s2, vcc_lo, exec_lo
; %bb.345:                              ;   in Loop: Header=BB2_214 Depth=2
	s_and_not1_saveexec_b32 s3, s3
; %bb.346:                              ;   in Loop: Header=BB2_214 Depth=2
	v_cmp_ge_u32_e32 vcc_lo, v0, v1
	s_and_not1_b32 s2, s2, exec_lo
	s_and_b32 s4, vcc_lo, exec_lo
	s_delay_alu instid0(SALU_CYCLE_1)
	s_or_b32 s2, s2, s4
; %bb.347:                              ;   in Loop: Header=BB2_214 Depth=2
	s_or_b32 exec_lo, exec_lo, s3
	s_delay_alu instid0(SALU_CYCLE_1) | instskip(SKIP_1) | instid1(SALU_CYCLE_1)
	s_and_not1_b32 s0, s0, exec_lo
	s_and_b32 s2, s2, exec_lo
	s_or_b32 s0, s0, s2
	s_or_b32 exec_lo, exec_lo, s1
	s_and_saveexec_b32 s1, s0
	s_cbranch_execnz .LBB2_274
	s_branch .LBB2_275
.LBB2_348:                              ;   in Loop: Header=BB2_214 Depth=2
	v_cmp_gt_u32_e32 vcc_lo, v18, v11
	s_and_b32 s0, vcc_lo, exec_lo
	s_and_not1_saveexec_b32 s1, s1
	s_cbranch_execz .LBB2_277
.LBB2_349:                              ;   in Loop: Header=BB2_214 Depth=2
	scratch_load_b32 v0, off, off offset:20
	s_mov_b32 s3, exec_lo
                                        ; implicit-def: $sgpr2
	s_waitcnt vmcnt(0)
	v_cmpx_ne_u32_e64 v0, v6
	s_xor_b32 s3, exec_lo, s3
; %bb.350:                              ;   in Loop: Header=BB2_214 Depth=2
	v_cmp_gt_u32_e32 vcc_lo, v0, v6
	s_and_b32 s2, vcc_lo, exec_lo
; %bb.351:                              ;   in Loop: Header=BB2_214 Depth=2
	s_and_not1_saveexec_b32 s3, s3
	s_cbranch_execz .LBB2_353
; %bb.352:                              ;   in Loop: Header=BB2_214 Depth=2
	scratch_load_b32 v0, off, off offset:24
	s_and_not1_b32 s2, s2, exec_lo
	s_waitcnt vmcnt(0)
	v_cmp_ge_u32_e32 vcc_lo, v0, v2
	s_and_b32 s4, vcc_lo, exec_lo
	s_delay_alu instid0(SALU_CYCLE_1)
	s_or_b32 s2, s2, s4
.LBB2_353:                              ;   in Loop: Header=BB2_214 Depth=2
	s_or_b32 exec_lo, exec_lo, s3
	s_delay_alu instid0(SALU_CYCLE_1) | instskip(SKIP_1) | instid1(SALU_CYCLE_1)
	s_and_not1_b32 s0, s0, exec_lo
	s_and_b32 s2, s2, exec_lo
	s_or_b32 s0, s0, s2
	s_or_b32 exec_lo, exec_lo, s1
	s_and_saveexec_b32 s1, s0
	s_cbranch_execnz .LBB2_278
	s_branch .LBB2_279
.LBB2_354:                              ;   in Loop: Header=BB2_214 Depth=2
	v_cmp_gt_u32_e32 vcc_lo, v18, v9
                                        ; implicit-def: $vgpr0_vgpr1_vgpr2_vgpr3
                                        ; implicit-def: $vgpr4_vgpr5_vgpr6_vgpr7
	s_and_b32 s0, vcc_lo, exec_lo
	s_and_not1_saveexec_b32 s1, s1
	s_cbranch_execz .LBB2_281
.LBB2_355:                              ;   in Loop: Header=BB2_214 Depth=2
	scratch_load_b32 v0, off, off offset:20
	s_mov_b32 s3, exec_lo
                                        ; implicit-def: $sgpr2
	s_waitcnt vmcnt(0)
	v_cmpx_ne_u32_e64 v0, v7
	s_xor_b32 s3, exec_lo, s3
; %bb.356:                              ;   in Loop: Header=BB2_214 Depth=2
	v_cmp_gt_u32_e32 vcc_lo, v0, v7
                                        ; implicit-def: $vgpr0_vgpr1_vgpr2_vgpr3
	s_and_b32 s2, vcc_lo, exec_lo
; %bb.357:                              ;   in Loop: Header=BB2_214 Depth=2
	s_and_not1_saveexec_b32 s3, s3
	s_cbranch_execz .LBB2_359
; %bb.358:                              ;   in Loop: Header=BB2_214 Depth=2
	scratch_load_b32 v0, off, off offset:24
	s_and_not1_b32 s2, s2, exec_lo
	s_waitcnt vmcnt(0)
	v_cmp_ge_u32_e32 vcc_lo, v0, v3
	s_and_b32 s4, vcc_lo, exec_lo
	s_delay_alu instid0(SALU_CYCLE_1)
	s_or_b32 s2, s2, s4
.LBB2_359:                              ;   in Loop: Header=BB2_214 Depth=2
	s_or_b32 exec_lo, exec_lo, s3
	s_delay_alu instid0(SALU_CYCLE_1) | instskip(SKIP_1) | instid1(SALU_CYCLE_1)
	s_and_not1_b32 s0, s0, exec_lo
	s_and_b32 s2, s2, exec_lo
	s_or_b32 s0, s0, s2
	s_or_b32 exec_lo, exec_lo, s1
	s_and_saveexec_b32 s1, s0
	s_cbranch_execnz .LBB2_282
	s_branch .LBB2_283
.LBB2_360:                              ;   in Loop: Header=BB2_214 Depth=2
	v_cmp_gt_u32_e32 vcc_lo, v0, v18
	s_and_b32 s0, vcc_lo, exec_lo
	s_and_not1_saveexec_b32 s1, s1
	s_cbranch_execz .LBB2_285
.LBB2_361:                              ;   in Loop: Header=BB2_214 Depth=2
	s_clause 0x1
	scratch_load_b32 v1, off, off offset:36
	scratch_load_b32 v2, off, off offset:20
	s_mov_b32 s3, exec_lo
                                        ; implicit-def: $sgpr2
	s_waitcnt vmcnt(0)
	v_cmpx_ne_u32_e64 v1, v2
	s_xor_b32 s3, exec_lo, s3
; %bb.362:                              ;   in Loop: Header=BB2_214 Depth=2
	v_cmp_gt_u32_e32 vcc_lo, v1, v2
	s_and_b32 s2, vcc_lo, exec_lo
; %bb.363:                              ;   in Loop: Header=BB2_214 Depth=2
	s_and_not1_saveexec_b32 s3, s3
	s_cbranch_execz .LBB2_365
; %bb.364:                              ;   in Loop: Header=BB2_214 Depth=2
	s_clause 0x1
	scratch_load_b32 v1, off, off offset:40
	scratch_load_b32 v2, off, off offset:24
	s_and_not1_b32 s2, s2, exec_lo
	s_waitcnt vmcnt(0)
	v_cmp_ge_u32_e32 vcc_lo, v1, v2
	s_and_b32 s4, vcc_lo, exec_lo
	s_delay_alu instid0(SALU_CYCLE_1)
	s_or_b32 s2, s2, s4
.LBB2_365:                              ;   in Loop: Header=BB2_214 Depth=2
	s_or_b32 exec_lo, exec_lo, s3
	s_delay_alu instid0(SALU_CYCLE_1) | instskip(SKIP_1) | instid1(SALU_CYCLE_1)
	s_and_not1_b32 s0, s0, exec_lo
	s_and_b32 s2, s2, exec_lo
	s_or_b32 s0, s0, s2
	s_or_b32 exec_lo, exec_lo, s1
	s_and_saveexec_b32 s1, s0
	s_cbranch_execnz .LBB2_286
	s_branch .LBB2_287
.LBB2_366:                              ;   in Loop: Header=BB2_214 Depth=2
	v_cmp_gt_u32_e32 vcc_lo, v0, v1
	s_and_b32 s0, vcc_lo, exec_lo
	s_and_not1_saveexec_b32 s1, s1
	s_cbranch_execz .LBB2_289
.LBB2_367:                              ;   in Loop: Header=BB2_214 Depth=2
	s_clause 0x1
	scratch_load_b32 v1, off, off offset:36
	scratch_load_b32 v2, off, off offset:52
	s_mov_b32 s3, exec_lo
                                        ; implicit-def: $sgpr2
	s_waitcnt vmcnt(0)
	v_cmpx_ne_u32_e64 v1, v2
	s_xor_b32 s3, exec_lo, s3
; %bb.368:                              ;   in Loop: Header=BB2_214 Depth=2
	v_cmp_gt_u32_e32 vcc_lo, v1, v2
	s_and_b32 s2, vcc_lo, exec_lo
; %bb.369:                              ;   in Loop: Header=BB2_214 Depth=2
	s_and_not1_saveexec_b32 s3, s3
	s_cbranch_execz .LBB2_371
; %bb.370:                              ;   in Loop: Header=BB2_214 Depth=2
	s_clause 0x1
	scratch_load_b32 v1, off, off offset:40
	scratch_load_b32 v2, off, off offset:56
	s_and_not1_b32 s2, s2, exec_lo
	s_waitcnt vmcnt(0)
	v_cmp_ge_u32_e32 vcc_lo, v1, v2
	s_and_b32 s4, vcc_lo, exec_lo
	s_delay_alu instid0(SALU_CYCLE_1)
	s_or_b32 s2, s2, s4
.LBB2_371:                              ;   in Loop: Header=BB2_214 Depth=2
	s_or_b32 exec_lo, exec_lo, s3
	s_delay_alu instid0(SALU_CYCLE_1) | instskip(SKIP_1) | instid1(SALU_CYCLE_1)
	s_and_not1_b32 s0, s0, exec_lo
	s_and_b32 s2, s2, exec_lo
	s_or_b32 s0, s0, s2
	s_or_b32 exec_lo, exec_lo, s1
	s_and_saveexec_b32 s1, s0
	s_cbranch_execnz .LBB2_290
	s_branch .LBB2_291
.LBB2_372:                              ;   in Loop: Header=BB2_214 Depth=2
	v_cmp_gt_u32_e32 vcc_lo, v0, v1
	s_and_b32 s0, vcc_lo, exec_lo
	s_and_not1_saveexec_b32 s1, s1
	s_cbranch_execz .LBB2_293
.LBB2_373:                              ;   in Loop: Header=BB2_214 Depth=2
	s_clause 0x1
	scratch_load_b32 v0, off, off offset:36
	scratch_load_b32 v1, off, off offset:68
	s_mov_b32 s3, exec_lo
                                        ; implicit-def: $sgpr2
	s_waitcnt vmcnt(0)
	v_cmpx_ne_u32_e64 v0, v1
	s_xor_b32 s3, exec_lo, s3
; %bb.374:                              ;   in Loop: Header=BB2_214 Depth=2
	v_cmp_gt_u32_e32 vcc_lo, v0, v1
	s_and_b32 s2, vcc_lo, exec_lo
; %bb.375:                              ;   in Loop: Header=BB2_214 Depth=2
	s_and_not1_saveexec_b32 s3, s3
	s_cbranch_execz .LBB2_377
; %bb.376:                              ;   in Loop: Header=BB2_214 Depth=2
	s_clause 0x1
	scratch_load_b32 v0, off, off offset:40
	scratch_load_b32 v1, off, off offset:72
	s_and_not1_b32 s2, s2, exec_lo
	s_waitcnt vmcnt(0)
	v_cmp_ge_u32_e32 vcc_lo, v0, v1
	s_and_b32 s4, vcc_lo, exec_lo
	s_delay_alu instid0(SALU_CYCLE_1)
	s_or_b32 s2, s2, s4
.LBB2_377:                              ;   in Loop: Header=BB2_214 Depth=2
	s_or_b32 exec_lo, exec_lo, s3
	s_delay_alu instid0(SALU_CYCLE_1) | instskip(SKIP_1) | instid1(SALU_CYCLE_1)
	s_and_not1_b32 s0, s0, exec_lo
	s_and_b32 s2, s2, exec_lo
	s_or_b32 s0, s0, s2
	s_or_b32 exec_lo, exec_lo, s1
	s_and_saveexec_b32 s1, s0
	s_cbranch_execnz .LBB2_294
	s_branch .LBB2_295
.LBB2_378:                              ;   in Loop: Header=BB2_214 Depth=2
	v_cmp_gt_u32_e32 vcc_lo, v1, v0
	s_and_b32 s0, vcc_lo, exec_lo
	s_and_not1_saveexec_b32 s1, s1
	s_cbranch_execz .LBB2_297
.LBB2_379:                              ;   in Loop: Header=BB2_214 Depth=2
	s_clause 0x1
	scratch_load_b32 v0, off, off offset:52
	scratch_load_b32 v2, off, off offset:20
	s_mov_b32 s3, exec_lo
                                        ; implicit-def: $sgpr2
	s_waitcnt vmcnt(0)
	v_cmpx_ne_u32_e64 v0, v2
	s_xor_b32 s3, exec_lo, s3
; %bb.380:                              ;   in Loop: Header=BB2_214 Depth=2
	v_cmp_gt_u32_e32 vcc_lo, v0, v2
	s_and_b32 s2, vcc_lo, exec_lo
; %bb.381:                              ;   in Loop: Header=BB2_214 Depth=2
	s_and_not1_saveexec_b32 s3, s3
	s_cbranch_execz .LBB2_383
; %bb.382:                              ;   in Loop: Header=BB2_214 Depth=2
	s_clause 0x1
	scratch_load_b32 v0, off, off offset:56
	scratch_load_b32 v2, off, off offset:24
	s_and_not1_b32 s2, s2, exec_lo
	s_waitcnt vmcnt(0)
	v_cmp_ge_u32_e32 vcc_lo, v0, v2
	s_and_b32 s4, vcc_lo, exec_lo
	s_delay_alu instid0(SALU_CYCLE_1)
	s_or_b32 s2, s2, s4
.LBB2_383:                              ;   in Loop: Header=BB2_214 Depth=2
	s_or_b32 exec_lo, exec_lo, s3
	s_delay_alu instid0(SALU_CYCLE_1) | instskip(SKIP_1) | instid1(SALU_CYCLE_1)
	s_and_not1_b32 s0, s0, exec_lo
	s_and_b32 s2, s2, exec_lo
	s_or_b32 s0, s0, s2
	s_or_b32 exec_lo, exec_lo, s1
	s_and_saveexec_b32 s1, s0
	s_cbranch_execnz .LBB2_298
	s_branch .LBB2_299
.LBB2_384:                              ;   in Loop: Header=BB2_214 Depth=2
	v_cmp_gt_u32_e32 vcc_lo, v1, v0
	s_and_b32 s0, vcc_lo, exec_lo
	s_and_not1_saveexec_b32 s1, s1
	s_cbranch_execz .LBB2_301
.LBB2_385:                              ;   in Loop: Header=BB2_214 Depth=2
	s_clause 0x1
	scratch_load_b32 v0, off, off offset:52
	scratch_load_b32 v2, off, off offset:36
	s_mov_b32 s3, exec_lo
                                        ; implicit-def: $sgpr2
	s_waitcnt vmcnt(0)
	v_cmpx_ne_u32_e64 v0, v2
	s_xor_b32 s3, exec_lo, s3
; %bb.386:                              ;   in Loop: Header=BB2_214 Depth=2
	v_cmp_gt_u32_e32 vcc_lo, v0, v2
	s_and_b32 s2, vcc_lo, exec_lo
; %bb.387:                              ;   in Loop: Header=BB2_214 Depth=2
	s_and_not1_saveexec_b32 s3, s3
	s_cbranch_execz .LBB2_389
; %bb.388:                              ;   in Loop: Header=BB2_214 Depth=2
	s_clause 0x1
	scratch_load_b32 v0, off, off offset:56
	scratch_load_b32 v2, off, off offset:40
	s_and_not1_b32 s2, s2, exec_lo
	s_waitcnt vmcnt(0)
	v_cmp_ge_u32_e32 vcc_lo, v0, v2
	s_and_b32 s4, vcc_lo, exec_lo
	s_delay_alu instid0(SALU_CYCLE_1)
	s_or_b32 s2, s2, s4
.LBB2_389:                              ;   in Loop: Header=BB2_214 Depth=2
	s_or_b32 exec_lo, exec_lo, s3
	s_delay_alu instid0(SALU_CYCLE_1) | instskip(SKIP_1) | instid1(SALU_CYCLE_1)
	s_and_not1_b32 s0, s0, exec_lo
	s_and_b32 s2, s2, exec_lo
	s_or_b32 s0, s0, s2
	s_or_b32 exec_lo, exec_lo, s1
	s_and_saveexec_b32 s1, s0
	s_cbranch_execnz .LBB2_302
	s_branch .LBB2_303
.LBB2_390:                              ;   in Loop: Header=BB2_214 Depth=2
	v_cmp_gt_u32_e32 vcc_lo, v1, v0
	s_and_b32 s0, vcc_lo, exec_lo
	s_and_not1_saveexec_b32 s1, s1
	s_cbranch_execz .LBB2_305
.LBB2_391:                              ;   in Loop: Header=BB2_214 Depth=2
	s_clause 0x1
	scratch_load_b32 v1, off, off offset:52
	scratch_load_b32 v2, off, off offset:68
	s_mov_b32 s3, exec_lo
                                        ; implicit-def: $sgpr2
	s_waitcnt vmcnt(0)
	v_cmpx_ne_u32_e64 v1, v2
	s_xor_b32 s3, exec_lo, s3
; %bb.392:                              ;   in Loop: Header=BB2_214 Depth=2
	v_cmp_gt_u32_e32 vcc_lo, v1, v2
	s_and_b32 s2, vcc_lo, exec_lo
; %bb.393:                              ;   in Loop: Header=BB2_214 Depth=2
	s_and_not1_saveexec_b32 s3, s3
	s_cbranch_execz .LBB2_395
; %bb.394:                              ;   in Loop: Header=BB2_214 Depth=2
	s_clause 0x1
	scratch_load_b32 v1, off, off offset:56
	scratch_load_b32 v2, off, off offset:72
	s_and_not1_b32 s2, s2, exec_lo
	s_waitcnt vmcnt(0)
	v_cmp_ge_u32_e32 vcc_lo, v1, v2
	s_and_b32 s4, vcc_lo, exec_lo
	s_delay_alu instid0(SALU_CYCLE_1)
	s_or_b32 s2, s2, s4
.LBB2_395:                              ;   in Loop: Header=BB2_214 Depth=2
	s_or_b32 exec_lo, exec_lo, s3
	s_delay_alu instid0(SALU_CYCLE_1) | instskip(SKIP_1) | instid1(SALU_CYCLE_1)
	s_and_not1_b32 s0, s0, exec_lo
	s_and_b32 s2, s2, exec_lo
	s_or_b32 s0, s0, s2
	s_or_b32 exec_lo, exec_lo, s1
	s_and_saveexec_b32 s1, s0
	s_cbranch_execnz .LBB2_306
	s_branch .LBB2_307
.LBB2_396:                              ;   in Loop: Header=BB2_214 Depth=2
	v_cmp_gt_u32_e32 vcc_lo, v0, v1
	s_and_b32 s0, vcc_lo, exec_lo
	s_and_not1_saveexec_b32 s1, s1
	s_cbranch_execz .LBB2_309
.LBB2_397:                              ;   in Loop: Header=BB2_214 Depth=2
	s_clause 0x1
	scratch_load_b32 v1, off, off offset:68
	scratch_load_b32 v2, off, off offset:20
	s_mov_b32 s3, exec_lo
                                        ; implicit-def: $sgpr2
	s_waitcnt vmcnt(0)
	v_cmpx_ne_u32_e64 v1, v2
	s_xor_b32 s3, exec_lo, s3
; %bb.398:                              ;   in Loop: Header=BB2_214 Depth=2
	v_cmp_gt_u32_e32 vcc_lo, v1, v2
	s_and_b32 s2, vcc_lo, exec_lo
; %bb.399:                              ;   in Loop: Header=BB2_214 Depth=2
	s_and_not1_saveexec_b32 s3, s3
	s_cbranch_execz .LBB2_401
; %bb.400:                              ;   in Loop: Header=BB2_214 Depth=2
	s_clause 0x1
	scratch_load_b32 v1, off, off offset:72
	scratch_load_b32 v2, off, off offset:24
	s_and_not1_b32 s2, s2, exec_lo
	s_waitcnt vmcnt(0)
	v_cmp_ge_u32_e32 vcc_lo, v1, v2
	s_and_b32 s4, vcc_lo, exec_lo
	s_delay_alu instid0(SALU_CYCLE_1)
	s_or_b32 s2, s2, s4
.LBB2_401:                              ;   in Loop: Header=BB2_214 Depth=2
	s_or_b32 exec_lo, exec_lo, s3
	s_delay_alu instid0(SALU_CYCLE_1) | instskip(SKIP_1) | instid1(SALU_CYCLE_1)
	s_and_not1_b32 s0, s0, exec_lo
	s_and_b32 s2, s2, exec_lo
	s_or_b32 s0, s0, s2
	s_or_b32 exec_lo, exec_lo, s1
	s_and_saveexec_b32 s1, s0
	s_cbranch_execnz .LBB2_310
	s_branch .LBB2_311
.LBB2_402:                              ;   in Loop: Header=BB2_214 Depth=2
	v_cmp_gt_u32_e32 vcc_lo, v0, v1
	s_and_b32 s0, vcc_lo, exec_lo
	s_and_not1_saveexec_b32 s1, s1
	s_cbranch_execz .LBB2_313
.LBB2_403:                              ;   in Loop: Header=BB2_214 Depth=2
	s_clause 0x1
	scratch_load_b32 v1, off, off offset:68
	scratch_load_b32 v2, off, off offset:36
	s_mov_b32 s3, exec_lo
                                        ; implicit-def: $sgpr2
	s_waitcnt vmcnt(0)
	v_cmpx_ne_u32_e64 v1, v2
	s_xor_b32 s3, exec_lo, s3
; %bb.404:                              ;   in Loop: Header=BB2_214 Depth=2
	v_cmp_gt_u32_e32 vcc_lo, v1, v2
	s_and_b32 s2, vcc_lo, exec_lo
; %bb.405:                              ;   in Loop: Header=BB2_214 Depth=2
	s_and_not1_saveexec_b32 s3, s3
	s_cbranch_execz .LBB2_407
; %bb.406:                              ;   in Loop: Header=BB2_214 Depth=2
	s_clause 0x1
	scratch_load_b32 v1, off, off offset:72
	scratch_load_b32 v2, off, off offset:40
	s_and_not1_b32 s2, s2, exec_lo
	s_waitcnt vmcnt(0)
	v_cmp_ge_u32_e32 vcc_lo, v1, v2
	s_and_b32 s4, vcc_lo, exec_lo
	s_delay_alu instid0(SALU_CYCLE_1)
	s_or_b32 s2, s2, s4
.LBB2_407:                              ;   in Loop: Header=BB2_214 Depth=2
	s_or_b32 exec_lo, exec_lo, s3
	s_delay_alu instid0(SALU_CYCLE_1) | instskip(SKIP_1) | instid1(SALU_CYCLE_1)
	s_and_not1_b32 s0, s0, exec_lo
	s_and_b32 s2, s2, exec_lo
	s_or_b32 s0, s0, s2
	s_or_b32 exec_lo, exec_lo, s1
	s_and_saveexec_b32 s1, s0
	s_cbranch_execnz .LBB2_314
	s_branch .LBB2_315
.LBB2_408:                              ;   in Loop: Header=BB2_214 Depth=2
	v_cmp_gt_u32_e32 vcc_lo, v0, v1
	s_and_b32 s0, vcc_lo, exec_lo
	s_and_not1_saveexec_b32 s1, s1
	s_cbranch_execz .LBB2_317
.LBB2_409:                              ;   in Loop: Header=BB2_214 Depth=2
	s_clause 0x1
	scratch_load_b32 v0, off, off offset:68
	scratch_load_b32 v1, off, off offset:52
	s_mov_b32 s3, exec_lo
                                        ; implicit-def: $sgpr2
	s_waitcnt vmcnt(0)
	v_cmpx_ne_u32_e64 v0, v1
	s_xor_b32 s3, exec_lo, s3
; %bb.410:                              ;   in Loop: Header=BB2_214 Depth=2
	v_cmp_gt_u32_e32 vcc_lo, v0, v1
	s_and_b32 s2, vcc_lo, exec_lo
; %bb.411:                              ;   in Loop: Header=BB2_214 Depth=2
	s_and_not1_saveexec_b32 s3, s3
	s_cbranch_execz .LBB2_413
; %bb.412:                              ;   in Loop: Header=BB2_214 Depth=2
	s_clause 0x1
	scratch_load_b32 v0, off, off offset:72
	scratch_load_b32 v1, off, off offset:56
	s_and_not1_b32 s2, s2, exec_lo
	s_waitcnt vmcnt(0)
	v_cmp_ge_u32_e32 vcc_lo, v0, v1
	s_and_b32 s4, vcc_lo, exec_lo
	s_delay_alu instid0(SALU_CYCLE_1)
	s_or_b32 s2, s2, s4
.LBB2_413:                              ;   in Loop: Header=BB2_214 Depth=2
	s_or_b32 exec_lo, exec_lo, s3
	s_delay_alu instid0(SALU_CYCLE_1) | instskip(SKIP_1) | instid1(SALU_CYCLE_1)
	s_and_not1_b32 s0, s0, exec_lo
	s_and_b32 s2, s2, exec_lo
	s_or_b32 s0, s0, s2
	s_or_b32 exec_lo, exec_lo, s1
	s_and_saveexec_b32 s1, s0
	s_cbranch_execnz .LBB2_318
	s_branch .LBB2_319
.LBB2_414:                              ;   in Loop: Header=BB2_214 Depth=2
	global_load_b64 v[0:1], v[0:1], off
	s_and_saveexec_b32 s1, s0
	s_cbranch_execz .LBB2_418
; %bb.415:                              ;   in Loop: Header=BB2_214 Depth=2
	s_clause 0x2
	global_load_b64 v[4:5], v53, s[2:3] offset:40
	global_load_b64 v[8:9], v53, s[2:3] offset:24 glc
	global_load_b64 v[6:7], v53, s[2:3]
	s_waitcnt vmcnt(2)
	v_add_co_u32 v10, vcc_lo, v4, 1
	v_add_co_ci_u32_e32 v11, vcc_lo, 0, v5, vcc_lo
	s_delay_alu instid0(VALU_DEP_2) | instskip(NEXT) | instid1(VALU_DEP_2)
	v_add_co_u32 v2, vcc_lo, v10, s4
	v_add_co_ci_u32_e32 v3, vcc_lo, s5, v11, vcc_lo
	s_delay_alu instid0(VALU_DEP_1) | instskip(SKIP_1) | instid1(VALU_DEP_1)
	v_cmp_eq_u64_e32 vcc_lo, 0, v[2:3]
	v_dual_cndmask_b32 v3, v3, v11 :: v_dual_cndmask_b32 v2, v2, v10
	v_and_b32_e32 v5, v3, v5
	s_delay_alu instid0(VALU_DEP_2) | instskip(NEXT) | instid1(VALU_DEP_1)
	v_and_b32_e32 v4, v2, v4
	v_mul_hi_u32 v10, v4, 24
	v_mul_lo_u32 v4, v4, 24
	s_waitcnt vmcnt(0)
	s_delay_alu instid0(VALU_DEP_1) | instskip(SKIP_2) | instid1(VALU_DEP_1)
	v_add_co_u32 v6, vcc_lo, v6, v4
	v_mov_b32_e32 v4, v8
	v_mul_lo_u32 v5, v5, 24
	v_add_nc_u32_e32 v5, v10, v5
	s_delay_alu instid0(VALU_DEP_1)
	v_add_co_ci_u32_e32 v7, vcc_lo, v7, v5, vcc_lo
	v_mov_b32_e32 v5, v9
	global_store_b64 v[6:7], v[8:9], off
	s_waitcnt_vscnt null, 0x0
	global_atomic_cmpswap_b64 v[4:5], v53, v[2:5], s[2:3] offset:24 glc
	s_waitcnt vmcnt(0)
	v_cmp_ne_u64_e32 vcc_lo, v[4:5], v[8:9]
	s_and_b32 exec_lo, exec_lo, vcc_lo
	s_cbranch_execz .LBB2_418
; %bb.416:                              ;   in Loop: Header=BB2_214 Depth=2
	s_mov_b32 s0, 0
.LBB2_417:                              ;   Parent Loop BB2_13 Depth=1
                                        ;     Parent Loop BB2_214 Depth=2
                                        ; =>    This Inner Loop Header: Depth=3
	s_sleep 1
	global_store_b64 v[6:7], v[4:5], off
	s_waitcnt_vscnt null, 0x0
	global_atomic_cmpswap_b64 v[8:9], v53, v[2:5], s[2:3] offset:24 glc
	s_waitcnt vmcnt(0)
	v_cmp_eq_u64_e32 vcc_lo, v[8:9], v[4:5]
	v_dual_mov_b32 v4, v8 :: v_dual_mov_b32 v5, v9
	s_or_b32 s0, vcc_lo, s0
	s_delay_alu instid0(SALU_CYCLE_1)
	s_and_not1_b32 exec_lo, exec_lo, s0
	s_cbranch_execnz .LBB2_417
.LBB2_418:                              ;   in Loop: Header=BB2_214 Depth=2
	s_or_b32 exec_lo, exec_lo, s1
	s_delay_alu instid0(SALU_CYCLE_1)
	s_and_b32 vcc_lo, exec_lo, s43
	s_cbranch_vccz .LBB2_497
; %bb.419:                              ;   in Loop: Header=BB2_214 Depth=2
	s_waitcnt vmcnt(0)
	v_dual_mov_b32 v3, v1 :: v_dual_and_b32 v2, -3, v0
	s_mov_b64 s[6:7], 53
	s_getpc_b64 s[4:5]
	s_add_u32 s4, s4, .str.4@rel32@lo+4
	s_addc_u32 s5, s5, .str.4@rel32@hi+12
	s_branch .LBB2_421
.LBB2_420:                              ;   in Loop: Header=BB2_421 Depth=3
	s_or_b32 exec_lo, exec_lo, s1
	s_sub_u32 s6, s6, s8
	s_subb_u32 s7, s7, s9
	s_add_u32 s4, s4, s8
	s_addc_u32 s5, s5, s9
	s_cmp_lg_u64 s[6:7], 0
	s_cbranch_scc0 .LBB2_496
.LBB2_421:                              ;   Parent Loop BB2_13 Depth=1
                                        ;     Parent Loop BB2_214 Depth=2
                                        ; =>    This Loop Header: Depth=3
                                        ;         Child Loop BB2_424 Depth 4
                                        ;         Child Loop BB2_431 Depth 4
	;; [unrolled: 1-line block ×11, first 2 shown]
	v_cmp_lt_u64_e64 s0, s[6:7], 56
	v_cmp_gt_u64_e64 s1, s[6:7], 7
	s_delay_alu instid0(VALU_DEP_2) | instskip(SKIP_2) | instid1(VALU_DEP_1)
	s_and_b32 s0, s0, exec_lo
	s_cselect_b32 s9, s7, 0
	s_cselect_b32 s8, s6, 56
	s_and_b32 vcc_lo, exec_lo, s1
	s_cbranch_vccnz .LBB2_426
; %bb.422:                              ;   in Loop: Header=BB2_421 Depth=3
	s_waitcnt vmcnt(0)
	v_mov_b32_e32 v4, 0
	v_mov_b32_e32 v5, 0
	s_cmp_eq_u64 s[6:7], 0
	s_mov_b64 s[0:1], 0
	s_cbranch_scc1 .LBB2_425
; %bb.423:                              ;   in Loop: Header=BB2_421 Depth=3
	v_mov_b32_e32 v4, 0
	v_mov_b32_e32 v5, 0
	s_lshl_b64 s[10:11], s[8:9], 3
	s_mov_b64 s[12:13], s[4:5]
.LBB2_424:                              ;   Parent Loop BB2_13 Depth=1
                                        ;     Parent Loop BB2_214 Depth=2
                                        ;       Parent Loop BB2_421 Depth=3
                                        ; =>      This Inner Loop Header: Depth=4
	global_load_u8 v6, v53, s[12:13]
	s_waitcnt vmcnt(0)
	v_and_b32_e32 v52, 0xffff, v6
	s_delay_alu instid0(VALU_DEP_1)
	v_lshlrev_b64 v[6:7], s0, v[52:53]
	s_add_u32 s0, s0, 8
	s_addc_u32 s1, s1, 0
	s_add_u32 s12, s12, 1
	s_addc_u32 s13, s13, 0
	s_cmp_lg_u32 s10, s0
	v_or_b32_e32 v4, v6, v4
	v_or_b32_e32 v5, v7, v5
	s_cbranch_scc1 .LBB2_424
.LBB2_425:                              ;   in Loop: Header=BB2_421 Depth=3
	s_mov_b32 s18, 0
	s_mov_b64 s[0:1], s[4:5]
	s_cbranch_execz .LBB2_427
	s_branch .LBB2_428
.LBB2_426:                              ;   in Loop: Header=BB2_421 Depth=3
                                        ; implicit-def: $sgpr18
	s_mov_b64 s[0:1], s[4:5]
.LBB2_427:                              ;   in Loop: Header=BB2_421 Depth=3
	global_load_b64 v[4:5], v53, s[4:5]
	s_add_i32 s18, s8, -8
	s_add_u32 s0, s4, 8
	s_addc_u32 s1, s5, 0
.LBB2_428:                              ;   in Loop: Header=BB2_421 Depth=3
	s_cmp_gt_u32 s18, 7
	s_cbranch_scc1 .LBB2_433
; %bb.429:                              ;   in Loop: Header=BB2_421 Depth=3
	v_mov_b32_e32 v6, 0
	v_mov_b32_e32 v7, 0
	s_cmp_eq_u32 s18, 0
	s_cbranch_scc1 .LBB2_432
; %bb.430:                              ;   in Loop: Header=BB2_421 Depth=3
	s_mov_b64 s[10:11], 0
	s_mov_b64 s[12:13], 0
.LBB2_431:                              ;   Parent Loop BB2_13 Depth=1
                                        ;     Parent Loop BB2_214 Depth=2
                                        ;       Parent Loop BB2_421 Depth=3
                                        ; =>      This Inner Loop Header: Depth=4
	s_delay_alu instid0(SALU_CYCLE_1)
	s_add_u32 s20, s0, s12
	s_addc_u32 s21, s1, s13
	s_add_u32 s12, s12, 1
	global_load_u8 v8, v53, s[20:21]
	s_addc_u32 s13, s13, 0
	s_waitcnt vmcnt(0)
	v_and_b32_e32 v52, 0xffff, v8
	s_delay_alu instid0(VALU_DEP_1) | instskip(SKIP_3) | instid1(VALU_DEP_1)
	v_lshlrev_b64 v[8:9], s10, v[52:53]
	s_add_u32 s10, s10, 8
	s_addc_u32 s11, s11, 0
	s_cmp_lg_u32 s18, s12
	v_or_b32_e32 v6, v8, v6
	s_delay_alu instid0(VALU_DEP_2)
	v_or_b32_e32 v7, v9, v7
	s_cbranch_scc1 .LBB2_431
.LBB2_432:                              ;   in Loop: Header=BB2_421 Depth=3
	s_mov_b32 s19, 0
	s_cbranch_execz .LBB2_434
	s_branch .LBB2_435
.LBB2_433:                              ;   in Loop: Header=BB2_421 Depth=3
                                        ; implicit-def: $vgpr6_vgpr7
                                        ; implicit-def: $sgpr19
.LBB2_434:                              ;   in Loop: Header=BB2_421 Depth=3
	global_load_b64 v[6:7], v53, s[0:1]
	s_add_i32 s19, s18, -8
	s_add_u32 s0, s0, 8
	s_addc_u32 s1, s1, 0
.LBB2_435:                              ;   in Loop: Header=BB2_421 Depth=3
	s_cmp_gt_u32 s19, 7
	s_cbranch_scc1 .LBB2_440
; %bb.436:                              ;   in Loop: Header=BB2_421 Depth=3
	v_mov_b32_e32 v8, 0
	v_mov_b32_e32 v9, 0
	s_cmp_eq_u32 s19, 0
	s_cbranch_scc1 .LBB2_439
; %bb.437:                              ;   in Loop: Header=BB2_421 Depth=3
	s_mov_b64 s[10:11], 0
	s_mov_b64 s[12:13], 0
.LBB2_438:                              ;   Parent Loop BB2_13 Depth=1
                                        ;     Parent Loop BB2_214 Depth=2
                                        ;       Parent Loop BB2_421 Depth=3
                                        ; =>      This Inner Loop Header: Depth=4
	s_delay_alu instid0(SALU_CYCLE_1)
	s_add_u32 s20, s0, s12
	s_addc_u32 s21, s1, s13
	s_add_u32 s12, s12, 1
	global_load_u8 v10, v53, s[20:21]
	s_addc_u32 s13, s13, 0
	s_waitcnt vmcnt(0)
	v_and_b32_e32 v52, 0xffff, v10
	s_delay_alu instid0(VALU_DEP_1) | instskip(SKIP_3) | instid1(VALU_DEP_1)
	v_lshlrev_b64 v[10:11], s10, v[52:53]
	s_add_u32 s10, s10, 8
	s_addc_u32 s11, s11, 0
	s_cmp_lg_u32 s19, s12
	v_or_b32_e32 v8, v10, v8
	s_delay_alu instid0(VALU_DEP_2)
	v_or_b32_e32 v9, v11, v9
	s_cbranch_scc1 .LBB2_438
.LBB2_439:                              ;   in Loop: Header=BB2_421 Depth=3
	s_mov_b32 s18, 0
	s_cbranch_execz .LBB2_441
	s_branch .LBB2_442
.LBB2_440:                              ;   in Loop: Header=BB2_421 Depth=3
                                        ; implicit-def: $sgpr18
.LBB2_441:                              ;   in Loop: Header=BB2_421 Depth=3
	global_load_b64 v[8:9], v53, s[0:1]
	s_add_i32 s18, s19, -8
	s_add_u32 s0, s0, 8
	s_addc_u32 s1, s1, 0
.LBB2_442:                              ;   in Loop: Header=BB2_421 Depth=3
	s_cmp_gt_u32 s18, 7
	s_cbranch_scc1 .LBB2_447
; %bb.443:                              ;   in Loop: Header=BB2_421 Depth=3
	v_mov_b32_e32 v10, 0
	v_mov_b32_e32 v11, 0
	s_cmp_eq_u32 s18, 0
	s_cbranch_scc1 .LBB2_446
; %bb.444:                              ;   in Loop: Header=BB2_421 Depth=3
	s_mov_b64 s[10:11], 0
	s_mov_b64 s[12:13], 0
.LBB2_445:                              ;   Parent Loop BB2_13 Depth=1
                                        ;     Parent Loop BB2_214 Depth=2
                                        ;       Parent Loop BB2_421 Depth=3
                                        ; =>      This Inner Loop Header: Depth=4
	s_delay_alu instid0(SALU_CYCLE_1)
	s_add_u32 s20, s0, s12
	s_addc_u32 s21, s1, s13
	s_add_u32 s12, s12, 1
	global_load_u8 v12, v53, s[20:21]
	s_addc_u32 s13, s13, 0
	s_waitcnt vmcnt(0)
	v_and_b32_e32 v52, 0xffff, v12
	s_delay_alu instid0(VALU_DEP_1) | instskip(SKIP_3) | instid1(VALU_DEP_1)
	v_lshlrev_b64 v[12:13], s10, v[52:53]
	s_add_u32 s10, s10, 8
	s_addc_u32 s11, s11, 0
	s_cmp_lg_u32 s18, s12
	v_or_b32_e32 v10, v12, v10
	s_delay_alu instid0(VALU_DEP_2)
	v_or_b32_e32 v11, v13, v11
	s_cbranch_scc1 .LBB2_445
.LBB2_446:                              ;   in Loop: Header=BB2_421 Depth=3
	s_mov_b32 s19, 0
	s_cbranch_execz .LBB2_448
	s_branch .LBB2_449
.LBB2_447:                              ;   in Loop: Header=BB2_421 Depth=3
                                        ; implicit-def: $vgpr10_vgpr11
                                        ; implicit-def: $sgpr19
.LBB2_448:                              ;   in Loop: Header=BB2_421 Depth=3
	global_load_b64 v[10:11], v53, s[0:1]
	s_add_i32 s19, s18, -8
	s_add_u32 s0, s0, 8
	s_addc_u32 s1, s1, 0
.LBB2_449:                              ;   in Loop: Header=BB2_421 Depth=3
	s_cmp_gt_u32 s19, 7
	s_cbranch_scc1 .LBB2_454
; %bb.450:                              ;   in Loop: Header=BB2_421 Depth=3
	v_mov_b32_e32 v12, 0
	v_mov_b32_e32 v13, 0
	s_cmp_eq_u32 s19, 0
	s_cbranch_scc1 .LBB2_453
; %bb.451:                              ;   in Loop: Header=BB2_421 Depth=3
	s_mov_b64 s[10:11], 0
	s_mov_b64 s[12:13], 0
.LBB2_452:                              ;   Parent Loop BB2_13 Depth=1
                                        ;     Parent Loop BB2_214 Depth=2
                                        ;       Parent Loop BB2_421 Depth=3
                                        ; =>      This Inner Loop Header: Depth=4
	s_delay_alu instid0(SALU_CYCLE_1)
	s_add_u32 s20, s0, s12
	s_addc_u32 s21, s1, s13
	s_add_u32 s12, s12, 1
	global_load_u8 v14, v53, s[20:21]
	s_addc_u32 s13, s13, 0
	s_waitcnt vmcnt(0)
	v_and_b32_e32 v52, 0xffff, v14
	s_delay_alu instid0(VALU_DEP_1) | instskip(SKIP_3) | instid1(VALU_DEP_1)
	v_lshlrev_b64 v[14:15], s10, v[52:53]
	s_add_u32 s10, s10, 8
	s_addc_u32 s11, s11, 0
	s_cmp_lg_u32 s19, s12
	v_or_b32_e32 v12, v14, v12
	s_delay_alu instid0(VALU_DEP_2)
	v_or_b32_e32 v13, v15, v13
	s_cbranch_scc1 .LBB2_452
.LBB2_453:                              ;   in Loop: Header=BB2_421 Depth=3
	s_mov_b32 s18, 0
	s_cbranch_execz .LBB2_455
	s_branch .LBB2_456
.LBB2_454:                              ;   in Loop: Header=BB2_421 Depth=3
                                        ; implicit-def: $sgpr18
.LBB2_455:                              ;   in Loop: Header=BB2_421 Depth=3
	global_load_b64 v[12:13], v53, s[0:1]
	s_add_i32 s18, s19, -8
	s_add_u32 s0, s0, 8
	s_addc_u32 s1, s1, 0
.LBB2_456:                              ;   in Loop: Header=BB2_421 Depth=3
	s_cmp_gt_u32 s18, 7
	s_cbranch_scc1 .LBB2_461
; %bb.457:                              ;   in Loop: Header=BB2_421 Depth=3
	v_mov_b32_e32 v14, 0
	v_mov_b32_e32 v15, 0
	s_cmp_eq_u32 s18, 0
	s_cbranch_scc1 .LBB2_460
; %bb.458:                              ;   in Loop: Header=BB2_421 Depth=3
	s_mov_b64 s[10:11], 0
	s_mov_b64 s[12:13], 0
.LBB2_459:                              ;   Parent Loop BB2_13 Depth=1
                                        ;     Parent Loop BB2_214 Depth=2
                                        ;       Parent Loop BB2_421 Depth=3
                                        ; =>      This Inner Loop Header: Depth=4
	s_delay_alu instid0(SALU_CYCLE_1)
	s_add_u32 s20, s0, s12
	s_addc_u32 s21, s1, s13
	s_add_u32 s12, s12, 1
	global_load_u8 v16, v53, s[20:21]
	s_addc_u32 s13, s13, 0
	s_waitcnt vmcnt(0)
	v_and_b32_e32 v52, 0xffff, v16
	s_delay_alu instid0(VALU_DEP_1) | instskip(SKIP_3) | instid1(VALU_DEP_1)
	v_lshlrev_b64 v[16:17], s10, v[52:53]
	s_add_u32 s10, s10, 8
	s_addc_u32 s11, s11, 0
	s_cmp_lg_u32 s18, s12
	v_or_b32_e32 v14, v16, v14
	s_delay_alu instid0(VALU_DEP_2)
	v_or_b32_e32 v15, v17, v15
	s_cbranch_scc1 .LBB2_459
.LBB2_460:                              ;   in Loop: Header=BB2_421 Depth=3
	s_mov_b32 s19, 0
	s_cbranch_execz .LBB2_462
	s_branch .LBB2_463
.LBB2_461:                              ;   in Loop: Header=BB2_421 Depth=3
                                        ; implicit-def: $vgpr14_vgpr15
                                        ; implicit-def: $sgpr19
.LBB2_462:                              ;   in Loop: Header=BB2_421 Depth=3
	global_load_b64 v[14:15], v53, s[0:1]
	s_add_i32 s19, s18, -8
	s_add_u32 s0, s0, 8
	s_addc_u32 s1, s1, 0
.LBB2_463:                              ;   in Loop: Header=BB2_421 Depth=3
	s_cmp_gt_u32 s19, 7
	s_cbranch_scc1 .LBB2_468
; %bb.464:                              ;   in Loop: Header=BB2_421 Depth=3
	v_mov_b32_e32 v16, 0
	v_mov_b32_e32 v17, 0
	s_cmp_eq_u32 s19, 0
	s_cbranch_scc1 .LBB2_467
; %bb.465:                              ;   in Loop: Header=BB2_421 Depth=3
	s_mov_b64 s[10:11], 0
	s_mov_b64 s[12:13], s[0:1]
.LBB2_466:                              ;   Parent Loop BB2_13 Depth=1
                                        ;     Parent Loop BB2_214 Depth=2
                                        ;       Parent Loop BB2_421 Depth=3
                                        ; =>      This Inner Loop Header: Depth=4
	global_load_u8 v18, v53, s[12:13]
	s_add_i32 s19, s19, -1
	s_waitcnt vmcnt(0)
	v_and_b32_e32 v52, 0xffff, v18
	s_delay_alu instid0(VALU_DEP_1)
	v_lshlrev_b64 v[18:19], s10, v[52:53]
	s_add_u32 s10, s10, 8
	s_addc_u32 s11, s11, 0
	s_add_u32 s12, s12, 1
	s_addc_u32 s13, s13, 0
	s_cmp_lg_u32 s19, 0
	v_or_b32_e32 v16, v18, v16
	v_or_b32_e32 v17, v19, v17
	s_cbranch_scc1 .LBB2_466
.LBB2_467:                              ;   in Loop: Header=BB2_421 Depth=3
	s_cbranch_execz .LBB2_469
	s_branch .LBB2_470
.LBB2_468:                              ;   in Loop: Header=BB2_421 Depth=3
.LBB2_469:                              ;   in Loop: Header=BB2_421 Depth=3
	global_load_b64 v[16:17], v53, s[0:1]
.LBB2_470:                              ;   in Loop: Header=BB2_421 Depth=3
	v_readfirstlane_b32 s0, v91
	v_mov_b32_e32 v24, 0
	v_mov_b32_e32 v25, 0
	s_delay_alu instid0(VALU_DEP_3) | instskip(NEXT) | instid1(VALU_DEP_1)
	v_cmp_eq_u32_e64 s0, s0, v91
	s_and_saveexec_b32 s1, s0
	s_cbranch_execz .LBB2_476
; %bb.471:                              ;   in Loop: Header=BB2_421 Depth=3
	global_load_b64 v[20:21], v53, s[2:3] offset:24 glc
	s_waitcnt vmcnt(0)
	buffer_gl1_inv
	buffer_gl0_inv
	s_clause 0x1
	global_load_b64 v[18:19], v53, s[2:3] offset:40
	global_load_b64 v[24:25], v53, s[2:3]
	s_mov_b32 s10, exec_lo
	s_waitcnt vmcnt(1)
	v_and_b32_e32 v19, v19, v21
	v_and_b32_e32 v18, v18, v20
	s_delay_alu instid0(VALU_DEP_2) | instskip(NEXT) | instid1(VALU_DEP_2)
	v_mul_lo_u32 v19, v19, 24
	v_mul_hi_u32 v30, v18, 24
	v_mul_lo_u32 v18, v18, 24
	s_delay_alu instid0(VALU_DEP_2) | instskip(SKIP_1) | instid1(VALU_DEP_2)
	v_add_nc_u32_e32 v19, v30, v19
	s_waitcnt vmcnt(0)
	v_add_co_u32 v18, vcc_lo, v24, v18
	s_delay_alu instid0(VALU_DEP_2)
	v_add_co_ci_u32_e32 v19, vcc_lo, v25, v19, vcc_lo
	global_load_b64 v[18:19], v[18:19], off glc
	s_waitcnt vmcnt(0)
	global_atomic_cmpswap_b64 v[24:25], v53, v[18:21], s[2:3] offset:24 glc
	s_waitcnt vmcnt(0)
	buffer_gl1_inv
	buffer_gl0_inv
	v_cmpx_ne_u64_e64 v[24:25], v[20:21]
	s_cbranch_execz .LBB2_475
; %bb.472:                              ;   in Loop: Header=BB2_421 Depth=3
	s_mov_b32 s11, 0
	.p2align	6
.LBB2_473:                              ;   Parent Loop BB2_13 Depth=1
                                        ;     Parent Loop BB2_214 Depth=2
                                        ;       Parent Loop BB2_421 Depth=3
                                        ; =>      This Inner Loop Header: Depth=4
	s_sleep 1
	s_clause 0x1
	global_load_b64 v[18:19], v53, s[2:3] offset:40
	global_load_b64 v[30:31], v53, s[2:3]
	v_dual_mov_b32 v20, v24 :: v_dual_mov_b32 v21, v25
	s_waitcnt vmcnt(1)
	s_delay_alu instid0(VALU_DEP_1) | instskip(SKIP_1) | instid1(VALU_DEP_1)
	v_and_b32_e32 v18, v18, v20
	s_waitcnt vmcnt(0)
	v_mad_u64_u32 v[24:25], null, v18, 24, v[30:31]
	s_delay_alu instid0(VALU_DEP_1) | instskip(NEXT) | instid1(VALU_DEP_1)
	v_dual_mov_b32 v18, v25 :: v_dual_and_b32 v19, v19, v21
	v_mad_u64_u32 v[30:31], null, v19, 24, v[18:19]
	s_delay_alu instid0(VALU_DEP_1)
	v_mov_b32_e32 v25, v30
	global_load_b64 v[18:19], v[24:25], off glc
	s_waitcnt vmcnt(0)
	global_atomic_cmpswap_b64 v[24:25], v53, v[18:21], s[2:3] offset:24 glc
	s_waitcnt vmcnt(0)
	buffer_gl1_inv
	buffer_gl0_inv
	v_cmp_eq_u64_e32 vcc_lo, v[24:25], v[20:21]
	s_or_b32 s11, vcc_lo, s11
	s_delay_alu instid0(SALU_CYCLE_1)
	s_and_not1_b32 exec_lo, exec_lo, s11
	s_cbranch_execnz .LBB2_473
; %bb.474:                              ;   in Loop: Header=BB2_421 Depth=3
	s_or_b32 exec_lo, exec_lo, s11
.LBB2_475:                              ;   in Loop: Header=BB2_421 Depth=3
	s_delay_alu instid0(SALU_CYCLE_1)
	s_or_b32 exec_lo, exec_lo, s10
.LBB2_476:                              ;   in Loop: Header=BB2_421 Depth=3
	s_delay_alu instid0(SALU_CYCLE_1)
	s_or_b32 exec_lo, exec_lo, s1
	s_clause 0x1
	global_load_b64 v[30:31], v53, s[2:3] offset:40
	global_load_b128 v[18:21], v53, s[2:3]
	v_readfirstlane_b32 s10, v24
	v_readfirstlane_b32 s11, v25
	s_mov_b32 s1, exec_lo
	s_waitcnt vmcnt(1)
	v_readfirstlane_b32 s12, v30
	v_readfirstlane_b32 s13, v31
	s_delay_alu instid0(VALU_DEP_1) | instskip(NEXT) | instid1(SALU_CYCLE_1)
	s_and_b64 s[12:13], s[10:11], s[12:13]
	s_mul_i32 s18, s13, 24
	s_mul_hi_u32 s19, s12, 24
	s_mul_i32 s20, s12, 24
	s_add_i32 s19, s19, s18
	s_waitcnt vmcnt(0)
	v_add_co_u32 v24, vcc_lo, v18, s20
	v_add_co_ci_u32_e32 v25, vcc_lo, s19, v19, vcc_lo
	s_and_saveexec_b32 s18, s0
	s_cbranch_execz .LBB2_478
; %bb.477:                              ;   in Loop: Header=BB2_421 Depth=3
	v_mov_b32_e32 v52, s1
	global_store_b128 v[24:25], v[52:55], off offset:8
.LBB2_478:                              ;   in Loop: Header=BB2_421 Depth=3
	s_or_b32 exec_lo, exec_lo, s18
	s_lshl_b64 s[12:13], s[12:13], 12
	v_or_b32_e32 v30, 2, v2
	v_add_co_u32 v20, vcc_lo, v20, s12
	v_add_co_ci_u32_e32 v21, vcc_lo, s13, v21, vcc_lo
	v_cmp_gt_u64_e64 vcc_lo, s[6:7], 56
	s_lshl_b32 s1, s8, 2
	s_delay_alu instid0(VALU_DEP_3) | instskip(SKIP_4) | instid1(VALU_DEP_1)
	v_readfirstlane_b32 s12, v20
	s_add_i32 s1, s1, 28
	v_readfirstlane_b32 s13, v21
	s_and_b32 s1, s1, 0x1e0
	v_cndmask_b32_e32 v2, v30, v2, vcc_lo
	v_and_or_b32 v2, 0xffffff1f, v2, s1
	s_clause 0x3
	global_store_b128 v29, v[2:5], s[12:13]
	global_store_b128 v29, v[6:9], s[12:13] offset:16
	global_store_b128 v29, v[10:13], s[12:13] offset:32
	;; [unrolled: 1-line block ×3, first 2 shown]
	s_and_saveexec_b32 s1, s0
	s_cbranch_execz .LBB2_486
; %bb.479:                              ;   in Loop: Header=BB2_421 Depth=3
	s_clause 0x1
	global_load_b64 v[10:11], v53, s[2:3] offset:32 glc
	global_load_b64 v[2:3], v53, s[2:3] offset:40
	v_dual_mov_b32 v8, s10 :: v_dual_mov_b32 v9, s11
	s_waitcnt vmcnt(0)
	v_readfirstlane_b32 s12, v2
	v_readfirstlane_b32 s13, v3
	s_delay_alu instid0(VALU_DEP_1) | instskip(NEXT) | instid1(SALU_CYCLE_1)
	s_and_b64 s[12:13], s[12:13], s[10:11]
	s_mul_i32 s13, s13, 24
	s_mul_hi_u32 s18, s12, 24
	s_mul_i32 s12, s12, 24
	s_add_i32 s18, s18, s13
	v_add_co_u32 v6, vcc_lo, v18, s12
	v_add_co_ci_u32_e32 v7, vcc_lo, s18, v19, vcc_lo
	s_mov_b32 s12, exec_lo
	global_store_b64 v[6:7], v[10:11], off
	s_waitcnt_vscnt null, 0x0
	global_atomic_cmpswap_b64 v[4:5], v53, v[8:11], s[2:3] offset:32 glc
	s_waitcnt vmcnt(0)
	v_cmpx_ne_u64_e64 v[4:5], v[10:11]
	s_cbranch_execz .LBB2_482
; %bb.480:                              ;   in Loop: Header=BB2_421 Depth=3
	s_mov_b32 s13, 0
.LBB2_481:                              ;   Parent Loop BB2_13 Depth=1
                                        ;     Parent Loop BB2_214 Depth=2
                                        ;       Parent Loop BB2_421 Depth=3
                                        ; =>      This Inner Loop Header: Depth=4
	v_dual_mov_b32 v2, s10 :: v_dual_mov_b32 v3, s11
	s_sleep 1
	global_store_b64 v[6:7], v[4:5], off
	s_waitcnt_vscnt null, 0x0
	global_atomic_cmpswap_b64 v[2:3], v53, v[2:5], s[2:3] offset:32 glc
	s_waitcnt vmcnt(0)
	v_cmp_eq_u64_e32 vcc_lo, v[2:3], v[4:5]
	v_dual_mov_b32 v5, v3 :: v_dual_mov_b32 v4, v2
	s_or_b32 s13, vcc_lo, s13
	s_delay_alu instid0(SALU_CYCLE_1)
	s_and_not1_b32 exec_lo, exec_lo, s13
	s_cbranch_execnz .LBB2_481
.LBB2_482:                              ;   in Loop: Header=BB2_421 Depth=3
	s_or_b32 exec_lo, exec_lo, s12
	global_load_b64 v[2:3], v53, s[2:3] offset:16
	s_mov_b32 s13, exec_lo
	s_mov_b32 s12, exec_lo
	v_mbcnt_lo_u32_b32 v4, s13, 0
	s_delay_alu instid0(VALU_DEP_1)
	v_cmpx_eq_u32_e32 0, v4
	s_cbranch_execz .LBB2_484
; %bb.483:                              ;   in Loop: Header=BB2_421 Depth=3
	s_bcnt1_i32_b32 s13, s13
	s_delay_alu instid0(SALU_CYCLE_1)
	v_mov_b32_e32 v52, s13
	s_waitcnt vmcnt(0)
	global_atomic_add_u64 v[2:3], v[52:53], off offset:8
.LBB2_484:                              ;   in Loop: Header=BB2_421 Depth=3
	s_or_b32 exec_lo, exec_lo, s12
	s_waitcnt vmcnt(0)
	global_load_b64 v[4:5], v[2:3], off offset:16
	s_waitcnt vmcnt(0)
	v_cmp_eq_u64_e32 vcc_lo, 0, v[4:5]
	s_cbranch_vccnz .LBB2_486
; %bb.485:                              ;   in Loop: Header=BB2_421 Depth=3
	global_load_b32 v52, v[2:3], off offset:24
	s_waitcnt vmcnt(0)
	v_and_b32_e32 v2, 0xffffff, v52
	s_waitcnt_vscnt null, 0x0
	global_store_b64 v[4:5], v[52:53], off
	v_readfirstlane_b32 m0, v2
	s_sendmsg sendmsg(MSG_INTERRUPT)
.LBB2_486:                              ;   in Loop: Header=BB2_421 Depth=3
	s_or_b32 exec_lo, exec_lo, s1
	v_add_co_u32 v2, vcc_lo, v20, v29
	v_add_co_ci_u32_e32 v3, vcc_lo, 0, v21, vcc_lo
	s_branch .LBB2_490
	.p2align	6
.LBB2_487:                              ;   in Loop: Header=BB2_490 Depth=4
	s_or_b32 exec_lo, exec_lo, s1
	s_delay_alu instid0(VALU_DEP_1) | instskip(NEXT) | instid1(VALU_DEP_1)
	v_readfirstlane_b32 s1, v4
	s_cmp_eq_u32 s1, 0
	s_cbranch_scc1 .LBB2_489
; %bb.488:                              ;   in Loop: Header=BB2_490 Depth=4
	s_sleep 1
	s_cbranch_execnz .LBB2_490
	s_branch .LBB2_492
	.p2align	6
.LBB2_489:                              ;   in Loop: Header=BB2_421 Depth=3
	s_branch .LBB2_492
.LBB2_490:                              ;   Parent Loop BB2_13 Depth=1
                                        ;     Parent Loop BB2_214 Depth=2
                                        ;       Parent Loop BB2_421 Depth=3
                                        ; =>      This Inner Loop Header: Depth=4
	v_mov_b32_e32 v4, 1
	s_and_saveexec_b32 s1, s0
	s_cbranch_execz .LBB2_487
; %bb.491:                              ;   in Loop: Header=BB2_490 Depth=4
	global_load_b32 v4, v[24:25], off offset:20 glc
	s_waitcnt vmcnt(0)
	buffer_gl1_inv
	buffer_gl0_inv
	v_and_b32_e32 v4, 1, v4
	s_branch .LBB2_487
.LBB2_492:                              ;   in Loop: Header=BB2_421 Depth=3
	global_load_b128 v[2:5], v[2:3], off
	s_and_saveexec_b32 s1, s0
	s_cbranch_execz .LBB2_420
; %bb.493:                              ;   in Loop: Header=BB2_421 Depth=3
	s_clause 0x2
	global_load_b64 v[6:7], v53, s[2:3] offset:40
	global_load_b64 v[10:11], v53, s[2:3] offset:24 glc
	global_load_b64 v[8:9], v53, s[2:3]
	s_waitcnt vmcnt(2)
	v_add_co_u32 v12, vcc_lo, v6, 1
	v_add_co_ci_u32_e32 v13, vcc_lo, 0, v7, vcc_lo
	s_delay_alu instid0(VALU_DEP_2) | instskip(NEXT) | instid1(VALU_DEP_2)
	v_add_co_u32 v4, vcc_lo, v12, s10
	v_add_co_ci_u32_e32 v5, vcc_lo, s11, v13, vcc_lo
	s_delay_alu instid0(VALU_DEP_1) | instskip(SKIP_1) | instid1(VALU_DEP_1)
	v_cmp_eq_u64_e32 vcc_lo, 0, v[4:5]
	v_dual_cndmask_b32 v5, v5, v13 :: v_dual_cndmask_b32 v4, v4, v12
	v_and_b32_e32 v7, v5, v7
	s_delay_alu instid0(VALU_DEP_2) | instskip(NEXT) | instid1(VALU_DEP_1)
	v_and_b32_e32 v6, v4, v6
	v_mul_hi_u32 v12, v6, 24
	v_mul_lo_u32 v6, v6, 24
	s_waitcnt vmcnt(0)
	s_delay_alu instid0(VALU_DEP_1) | instskip(SKIP_2) | instid1(VALU_DEP_1)
	v_add_co_u32 v8, vcc_lo, v8, v6
	v_mov_b32_e32 v6, v10
	v_mul_lo_u32 v7, v7, 24
	v_add_nc_u32_e32 v7, v12, v7
	s_delay_alu instid0(VALU_DEP_1)
	v_add_co_ci_u32_e32 v9, vcc_lo, v9, v7, vcc_lo
	v_mov_b32_e32 v7, v11
	global_store_b64 v[8:9], v[10:11], off
	s_waitcnt_vscnt null, 0x0
	global_atomic_cmpswap_b64 v[6:7], v53, v[4:7], s[2:3] offset:24 glc
	s_waitcnt vmcnt(0)
	v_cmp_ne_u64_e32 vcc_lo, v[6:7], v[10:11]
	s_and_b32 exec_lo, exec_lo, vcc_lo
	s_cbranch_execz .LBB2_420
; %bb.494:                              ;   in Loop: Header=BB2_421 Depth=3
	s_mov_b32 s0, 0
.LBB2_495:                              ;   Parent Loop BB2_13 Depth=1
                                        ;     Parent Loop BB2_214 Depth=2
                                        ;       Parent Loop BB2_421 Depth=3
                                        ; =>      This Inner Loop Header: Depth=4
	s_sleep 1
	global_store_b64 v[8:9], v[6:7], off
	s_waitcnt_vscnt null, 0x0
	global_atomic_cmpswap_b64 v[10:11], v53, v[4:7], s[2:3] offset:24 glc
	s_waitcnt vmcnt(0)
	v_cmp_eq_u64_e32 vcc_lo, v[10:11], v[6:7]
	v_dual_mov_b32 v6, v10 :: v_dual_mov_b32 v7, v11
	s_or_b32 s0, vcc_lo, s0
	s_delay_alu instid0(SALU_CYCLE_1)
	s_and_not1_b32 exec_lo, exec_lo, s0
	s_cbranch_execnz .LBB2_495
	s_branch .LBB2_420
.LBB2_496:                              ;   in Loop: Header=BB2_214 Depth=2
	s_branch .LBB2_524
.LBB2_497:                              ;   in Loop: Header=BB2_214 Depth=2
	s_cbranch_execz .LBB2_524
; %bb.498:                              ;   in Loop: Header=BB2_214 Depth=2
	v_readfirstlane_b32 s0, v91
	s_waitcnt vmcnt(0)
	v_mov_b32_e32 v2, 0
	v_mov_b32_e32 v3, 0
	s_delay_alu instid0(VALU_DEP_3) | instskip(NEXT) | instid1(VALU_DEP_1)
	v_cmp_eq_u32_e64 s0, s0, v91
	s_and_saveexec_b32 s1, s0
	s_cbranch_execz .LBB2_504
; %bb.499:                              ;   in Loop: Header=BB2_214 Depth=2
	global_load_b64 v[4:5], v53, s[2:3] offset:24 glc
	s_waitcnt vmcnt(0)
	buffer_gl1_inv
	buffer_gl0_inv
	s_clause 0x1
	global_load_b64 v[2:3], v53, s[2:3] offset:40
	global_load_b64 v[6:7], v53, s[2:3]
	s_mov_b32 s4, exec_lo
	s_waitcnt vmcnt(1)
	v_and_b32_e32 v3, v3, v5
	v_and_b32_e32 v2, v2, v4
	s_delay_alu instid0(VALU_DEP_2) | instskip(NEXT) | instid1(VALU_DEP_2)
	v_mul_lo_u32 v3, v3, 24
	v_mul_hi_u32 v8, v2, 24
	v_mul_lo_u32 v2, v2, 24
	s_delay_alu instid0(VALU_DEP_2) | instskip(SKIP_1) | instid1(VALU_DEP_2)
	v_add_nc_u32_e32 v3, v8, v3
	s_waitcnt vmcnt(0)
	v_add_co_u32 v2, vcc_lo, v6, v2
	s_delay_alu instid0(VALU_DEP_2)
	v_add_co_ci_u32_e32 v3, vcc_lo, v7, v3, vcc_lo
	global_load_b64 v[2:3], v[2:3], off glc
	s_waitcnt vmcnt(0)
	global_atomic_cmpswap_b64 v[2:3], v53, v[2:5], s[2:3] offset:24 glc
	s_waitcnt vmcnt(0)
	buffer_gl1_inv
	buffer_gl0_inv
	v_cmpx_ne_u64_e64 v[2:3], v[4:5]
	s_cbranch_execz .LBB2_503
; %bb.500:                              ;   in Loop: Header=BB2_214 Depth=2
	s_mov_b32 s5, 0
	.p2align	6
.LBB2_501:                              ;   Parent Loop BB2_13 Depth=1
                                        ;     Parent Loop BB2_214 Depth=2
                                        ; =>    This Inner Loop Header: Depth=3
	s_sleep 1
	s_clause 0x1
	global_load_b64 v[6:7], v53, s[2:3] offset:40
	global_load_b64 v[8:9], v53, s[2:3]
	v_dual_mov_b32 v5, v3 :: v_dual_mov_b32 v4, v2
	s_waitcnt vmcnt(1)
	s_delay_alu instid0(VALU_DEP_1) | instskip(SKIP_1) | instid1(VALU_DEP_1)
	v_and_b32_e32 v6, v6, v4
	s_waitcnt vmcnt(0)
	v_mad_u64_u32 v[2:3], null, v6, 24, v[8:9]
	v_and_b32_e32 v8, v7, v5
	s_delay_alu instid0(VALU_DEP_1) | instskip(NEXT) | instid1(VALU_DEP_1)
	v_mad_u64_u32 v[6:7], null, v8, 24, v[3:4]
	v_mov_b32_e32 v3, v6
	global_load_b64 v[2:3], v[2:3], off glc
	s_waitcnt vmcnt(0)
	global_atomic_cmpswap_b64 v[2:3], v53, v[2:5], s[2:3] offset:24 glc
	s_waitcnt vmcnt(0)
	buffer_gl1_inv
	buffer_gl0_inv
	v_cmp_eq_u64_e32 vcc_lo, v[2:3], v[4:5]
	s_or_b32 s5, vcc_lo, s5
	s_delay_alu instid0(SALU_CYCLE_1)
	s_and_not1_b32 exec_lo, exec_lo, s5
	s_cbranch_execnz .LBB2_501
; %bb.502:                              ;   in Loop: Header=BB2_214 Depth=2
	s_or_b32 exec_lo, exec_lo, s5
.LBB2_503:                              ;   in Loop: Header=BB2_214 Depth=2
	s_delay_alu instid0(SALU_CYCLE_1)
	s_or_b32 exec_lo, exec_lo, s4
.LBB2_504:                              ;   in Loop: Header=BB2_214 Depth=2
	s_delay_alu instid0(SALU_CYCLE_1)
	s_or_b32 exec_lo, exec_lo, s1
	s_clause 0x1
	global_load_b64 v[8:9], v53, s[2:3] offset:40
	global_load_b128 v[4:7], v53, s[2:3]
	v_readfirstlane_b32 s4, v2
	v_readfirstlane_b32 s5, v3
	s_mov_b32 s1, exec_lo
	s_waitcnt vmcnt(1)
	v_readfirstlane_b32 s6, v8
	v_readfirstlane_b32 s7, v9
	s_delay_alu instid0(VALU_DEP_1) | instskip(NEXT) | instid1(SALU_CYCLE_1)
	s_and_b64 s[6:7], s[4:5], s[6:7]
	s_mul_i32 s8, s7, 24
	s_mul_hi_u32 s9, s6, 24
	s_mul_i32 s10, s6, 24
	s_add_i32 s9, s9, s8
	s_waitcnt vmcnt(0)
	v_add_co_u32 v8, vcc_lo, v4, s10
	v_add_co_ci_u32_e32 v9, vcc_lo, s9, v5, vcc_lo
	s_and_saveexec_b32 s8, s0
	s_cbranch_execz .LBB2_506
; %bb.505:                              ;   in Loop: Header=BB2_214 Depth=2
	v_mov_b32_e32 v52, s1
	global_store_b128 v[8:9], v[52:55], off offset:8
.LBB2_506:                              ;   in Loop: Header=BB2_214 Depth=2
	s_or_b32 exec_lo, exec_lo, s8
	s_lshl_b64 s[6:7], s[6:7], 12
	s_mov_b32 s37, s36
	v_add_co_u32 v6, vcc_lo, v6, s6
	v_add_co_ci_u32_e32 v7, vcc_lo, s7, v7, vcc_lo
	s_mov_b32 s38, s36
	s_mov_b32 s39, s36
	v_and_or_b32 v0, 0xffffff1d, v0, 34
	v_mov_b32_e32 v2, v53
	v_dual_mov_b32 v3, v53 :: v_dual_mov_b32 v10, s36
	v_readfirstlane_b32 s6, v6
	v_readfirstlane_b32 s7, v7
	v_dual_mov_b32 v11, s37 :: v_dual_mov_b32 v12, s38
	v_mov_b32_e32 v13, s39
	s_clause 0x3
	global_store_b128 v29, v[0:3], s[6:7]
	global_store_b128 v29, v[10:13], s[6:7] offset:16
	global_store_b128 v29, v[10:13], s[6:7] offset:32
	;; [unrolled: 1-line block ×3, first 2 shown]
	s_and_saveexec_b32 s1, s0
	s_cbranch_execz .LBB2_514
; %bb.507:                              ;   in Loop: Header=BB2_214 Depth=2
	s_clause 0x1
	global_load_b64 v[12:13], v53, s[2:3] offset:32 glc
	global_load_b64 v[0:1], v53, s[2:3] offset:40
	v_dual_mov_b32 v10, s4 :: v_dual_mov_b32 v11, s5
	s_waitcnt vmcnt(0)
	v_readfirstlane_b32 s6, v0
	v_readfirstlane_b32 s7, v1
	s_delay_alu instid0(VALU_DEP_1) | instskip(NEXT) | instid1(SALU_CYCLE_1)
	s_and_b64 s[6:7], s[6:7], s[4:5]
	s_mul_i32 s7, s7, 24
	s_mul_hi_u32 s8, s6, 24
	s_mul_i32 s6, s6, 24
	s_add_i32 s8, s8, s7
	v_add_co_u32 v4, vcc_lo, v4, s6
	v_add_co_ci_u32_e32 v5, vcc_lo, s8, v5, vcc_lo
	s_mov_b32 s6, exec_lo
	global_store_b64 v[4:5], v[12:13], off
	s_waitcnt_vscnt null, 0x0
	global_atomic_cmpswap_b64 v[2:3], v53, v[10:13], s[2:3] offset:32 glc
	s_waitcnt vmcnt(0)
	v_cmpx_ne_u64_e64 v[2:3], v[12:13]
	s_cbranch_execz .LBB2_510
; %bb.508:                              ;   in Loop: Header=BB2_214 Depth=2
	s_mov_b32 s7, 0
.LBB2_509:                              ;   Parent Loop BB2_13 Depth=1
                                        ;     Parent Loop BB2_214 Depth=2
                                        ; =>    This Inner Loop Header: Depth=3
	v_dual_mov_b32 v0, s4 :: v_dual_mov_b32 v1, s5
	s_sleep 1
	global_store_b64 v[4:5], v[2:3], off
	s_waitcnt_vscnt null, 0x0
	global_atomic_cmpswap_b64 v[0:1], v53, v[0:3], s[2:3] offset:32 glc
	s_waitcnt vmcnt(0)
	v_cmp_eq_u64_e32 vcc_lo, v[0:1], v[2:3]
	v_dual_mov_b32 v3, v1 :: v_dual_mov_b32 v2, v0
	s_or_b32 s7, vcc_lo, s7
	s_delay_alu instid0(SALU_CYCLE_1)
	s_and_not1_b32 exec_lo, exec_lo, s7
	s_cbranch_execnz .LBB2_509
.LBB2_510:                              ;   in Loop: Header=BB2_214 Depth=2
	s_or_b32 exec_lo, exec_lo, s6
	global_load_b64 v[0:1], v53, s[2:3] offset:16
	s_mov_b32 s7, exec_lo
	s_mov_b32 s6, exec_lo
	v_mbcnt_lo_u32_b32 v2, s7, 0
	s_delay_alu instid0(VALU_DEP_1)
	v_cmpx_eq_u32_e32 0, v2
	s_cbranch_execz .LBB2_512
; %bb.511:                              ;   in Loop: Header=BB2_214 Depth=2
	s_bcnt1_i32_b32 s7, s7
	s_delay_alu instid0(SALU_CYCLE_1)
	v_mov_b32_e32 v52, s7
	s_waitcnt vmcnt(0)
	global_atomic_add_u64 v[0:1], v[52:53], off offset:8
.LBB2_512:                              ;   in Loop: Header=BB2_214 Depth=2
	s_or_b32 exec_lo, exec_lo, s6
	s_waitcnt vmcnt(0)
	global_load_b64 v[2:3], v[0:1], off offset:16
	s_waitcnt vmcnt(0)
	v_cmp_eq_u64_e32 vcc_lo, 0, v[2:3]
	s_cbranch_vccnz .LBB2_514
; %bb.513:                              ;   in Loop: Header=BB2_214 Depth=2
	global_load_b32 v52, v[0:1], off offset:24
	s_waitcnt vmcnt(0)
	v_and_b32_e32 v0, 0xffffff, v52
	s_waitcnt_vscnt null, 0x0
	global_store_b64 v[2:3], v[52:53], off
	v_readfirstlane_b32 m0, v0
	s_sendmsg sendmsg(MSG_INTERRUPT)
.LBB2_514:                              ;   in Loop: Header=BB2_214 Depth=2
	s_or_b32 exec_lo, exec_lo, s1
	s_branch .LBB2_518
	.p2align	6
.LBB2_515:                              ;   in Loop: Header=BB2_518 Depth=3
	s_or_b32 exec_lo, exec_lo, s1
	s_delay_alu instid0(VALU_DEP_1) | instskip(NEXT) | instid1(VALU_DEP_1)
	v_readfirstlane_b32 s1, v0
	s_cmp_eq_u32 s1, 0
	s_cbranch_scc1 .LBB2_517
; %bb.516:                              ;   in Loop: Header=BB2_518 Depth=3
	s_sleep 1
	s_cbranch_execnz .LBB2_518
	s_branch .LBB2_520
	.p2align	6
.LBB2_517:                              ;   in Loop: Header=BB2_214 Depth=2
	s_branch .LBB2_520
.LBB2_518:                              ;   Parent Loop BB2_13 Depth=1
                                        ;     Parent Loop BB2_214 Depth=2
                                        ; =>    This Inner Loop Header: Depth=3
	v_mov_b32_e32 v0, 1
	s_and_saveexec_b32 s1, s0
	s_cbranch_execz .LBB2_515
; %bb.519:                              ;   in Loop: Header=BB2_518 Depth=3
	global_load_b32 v0, v[8:9], off offset:20 glc
	s_waitcnt vmcnt(0)
	buffer_gl1_inv
	buffer_gl0_inv
	v_and_b32_e32 v0, 1, v0
	s_branch .LBB2_515
.LBB2_520:                              ;   in Loop: Header=BB2_214 Depth=2
	s_and_b32 exec_lo, exec_lo, s0
	s_cbranch_execz .LBB2_524
; %bb.521:                              ;   in Loop: Header=BB2_214 Depth=2
	s_clause 0x2
	global_load_b64 v[2:3], v53, s[2:3] offset:40
	global_load_b64 v[6:7], v53, s[2:3] offset:24 glc
	global_load_b64 v[4:5], v53, s[2:3]
	s_waitcnt vmcnt(2)
	v_add_co_u32 v8, vcc_lo, v2, 1
	v_add_co_ci_u32_e32 v9, vcc_lo, 0, v3, vcc_lo
	s_delay_alu instid0(VALU_DEP_2) | instskip(NEXT) | instid1(VALU_DEP_2)
	v_add_co_u32 v0, vcc_lo, v8, s4
	v_add_co_ci_u32_e32 v1, vcc_lo, s5, v9, vcc_lo
	s_delay_alu instid0(VALU_DEP_1) | instskip(SKIP_1) | instid1(VALU_DEP_1)
	v_cmp_eq_u64_e32 vcc_lo, 0, v[0:1]
	v_dual_cndmask_b32 v1, v1, v9 :: v_dual_cndmask_b32 v0, v0, v8
	v_and_b32_e32 v3, v1, v3
	s_delay_alu instid0(VALU_DEP_2) | instskip(NEXT) | instid1(VALU_DEP_1)
	v_and_b32_e32 v2, v0, v2
	v_mul_hi_u32 v8, v2, 24
	v_mul_lo_u32 v2, v2, 24
	s_waitcnt vmcnt(0)
	s_delay_alu instid0(VALU_DEP_1) | instskip(SKIP_2) | instid1(VALU_DEP_1)
	v_add_co_u32 v4, vcc_lo, v4, v2
	v_mov_b32_e32 v2, v6
	v_mul_lo_u32 v3, v3, 24
	v_add_nc_u32_e32 v3, v8, v3
	s_delay_alu instid0(VALU_DEP_1)
	v_add_co_ci_u32_e32 v5, vcc_lo, v5, v3, vcc_lo
	v_mov_b32_e32 v3, v7
	global_store_b64 v[4:5], v[6:7], off
	s_waitcnt_vscnt null, 0x0
	global_atomic_cmpswap_b64 v[2:3], v53, v[0:3], s[2:3] offset:24 glc
	s_waitcnt vmcnt(0)
	v_cmp_ne_u64_e32 vcc_lo, v[2:3], v[6:7]
	s_and_b32 exec_lo, exec_lo, vcc_lo
	s_cbranch_execz .LBB2_524
; %bb.522:                              ;   in Loop: Header=BB2_214 Depth=2
	s_mov_b32 s0, 0
.LBB2_523:                              ;   Parent Loop BB2_13 Depth=1
                                        ;     Parent Loop BB2_214 Depth=2
                                        ; =>    This Inner Loop Header: Depth=3
	s_sleep 1
	global_store_b64 v[4:5], v[2:3], off
	s_waitcnt_vscnt null, 0x0
	global_atomic_cmpswap_b64 v[6:7], v53, v[0:3], s[2:3] offset:24 glc
	s_waitcnt vmcnt(0)
	v_cmp_eq_u64_e32 vcc_lo, v[6:7], v[2:3]
	v_dual_mov_b32 v2, v6 :: v_dual_mov_b32 v3, v7
	s_or_b32 s0, vcc_lo, s0
	s_delay_alu instid0(SALU_CYCLE_1)
	s_and_not1_b32 exec_lo, exec_lo, s0
	s_cbranch_execnz .LBB2_523
.LBB2_524:                              ;   in Loop: Header=BB2_214 Depth=2
	s_or_b32 exec_lo, exec_lo, s17
	scratch_load_u8 v0, off, off offset:16
	s_waitcnt vmcnt(1)
	v_mov_b32_e32 v2, 0x58
	s_mov_b32 s3, exec_lo
	s_clause 0x1
	global_store_b8 v[22:23], v2, off offset:48
	global_store_b32 v[22:23], v53, off offset:52
	v_cmpx_lt_i32_e32 0, v28
	s_cbranch_execz .LBB2_530
; %bb.525:                              ;   in Loop: Header=BB2_214 Depth=2
	s_mov_b32 s0, 0
                                        ; implicit-def: $vgpr2
                                        ; implicit-def: $vgpr1
	s_mov_b32 s1, exec_lo
	v_cmpx_lt_u32_e32 3, v28
	s_xor_b32 s4, exec_lo, s1
	s_cbranch_execnz .LBB2_538
; %bb.526:                              ;   in Loop: Header=BB2_214 Depth=2
	s_and_not1_saveexec_b32 s1, s4
	s_cbranch_execnz .LBB2_557
.LBB2_527:                              ;   in Loop: Header=BB2_214 Depth=2
	s_or_b32 exec_lo, exec_lo, s1
	s_and_saveexec_b32 s1, s0
	s_cbranch_execz .LBB2_529
.LBB2_528:                              ;   in Loop: Header=BB2_214 Depth=2
	s_waitcnt vmcnt(0)
	v_mov_b32_e32 v2, v1
	global_store_b8 v[22:23], v1, off offset:48
.LBB2_529:                              ;   in Loop: Header=BB2_214 Depth=2
	s_or_b32 exec_lo, exec_lo, s1
.LBB2_530:                              ;   in Loop: Header=BB2_214 Depth=2
	s_delay_alu instid0(SALU_CYCLE_1) | instskip(SKIP_3) | instid1(VALU_DEP_1)
	s_or_b32 exec_lo, exec_lo, s3
	s_waitcnt vmcnt(0)
	v_and_b32_e32 v1, 0xff, v2
	v_and_b32_e32 v0, 0xff, v0
	v_cmp_eq_u16_e64 s0, v0, v1
	v_cmp_ne_u16_e32 vcc_lo, v0, v1
	v_mov_b32_e32 v0, 16
	s_and_saveexec_b32 s1, vcc_lo
	s_cbranch_execz .LBB2_536
; %bb.531:                              ;   in Loop: Header=BB2_214 Depth=2
	scratch_load_u8 v0, off, off offset:32
	s_waitcnt vmcnt(0)
	v_cmp_eq_u16_e64 s2, v0, v1
	v_cmp_ne_u16_e32 vcc_lo, v0, v1
	v_mov_b32_e32 v0, v84
	s_and_saveexec_b32 s3, vcc_lo
	s_cbranch_execz .LBB2_535
; %bb.532:                              ;   in Loop: Header=BB2_214 Depth=2
	scratch_load_u8 v0, off, off offset:48
	s_waitcnt vmcnt(0)
	v_cmp_eq_u16_e64 s4, v0, v1
	v_cmp_ne_u16_e32 vcc_lo, v0, v1
	v_mov_b32_e32 v0, v85
	s_and_saveexec_b32 s5, vcc_lo
	s_cbranch_execz .LBB2_534
; %bb.533:                              ;   in Loop: Header=BB2_214 Depth=2
	scratch_load_u8 v0, off, off offset:64
	s_and_not1_b32 s4, s4, exec_lo
	s_waitcnt vmcnt(0)
	v_cmp_eq_u16_e32 vcc_lo, v0, v1
	v_mov_b32_e32 v0, v86
	s_and_b32 s6, vcc_lo, exec_lo
	s_delay_alu instid0(SALU_CYCLE_1)
	s_or_b32 s4, s4, s6
.LBB2_534:                              ;   in Loop: Header=BB2_214 Depth=2
	s_or_b32 exec_lo, exec_lo, s5
	s_delay_alu instid0(SALU_CYCLE_1) | instskip(SKIP_1) | instid1(SALU_CYCLE_1)
	s_and_not1_b32 s2, s2, exec_lo
	s_and_b32 s4, s4, exec_lo
	s_or_b32 s2, s2, s4
.LBB2_535:                              ;   in Loop: Header=BB2_214 Depth=2
	s_or_b32 exec_lo, exec_lo, s3
	s_delay_alu instid0(SALU_CYCLE_1) | instskip(SKIP_1) | instid1(SALU_CYCLE_1)
	s_and_not1_b32 s0, s0, exec_lo
	s_and_b32 s2, s2, exec_lo
	s_or_b32 s0, s0, s2
.LBB2_536:                              ;   in Loop: Header=BB2_214 Depth=2
	s_or_b32 exec_lo, exec_lo, s1
	s_delay_alu instid0(SALU_CYCLE_1)
	s_and_b32 exec_lo, exec_lo, s0
	s_cbranch_execz .LBB2_213
; %bb.537:                              ;   in Loop: Header=BB2_214 Depth=2
	scratch_load_b32 v0, v0, off offset:8
	s_waitcnt vmcnt(0)
	global_store_b32 v[22:23], v0, off offset:52
	s_branch .LBB2_213
.LBB2_538:                              ;   in Loop: Header=BB2_214 Depth=2
                                        ; implicit-def: $vgpr2
                                        ; implicit-def: $vgpr1
	s_mov_b32 s1, exec_lo
	v_cmpx_lt_u32_e32 5, v28
	s_xor_b32 s5, exec_lo, s1
	s_cbranch_execz .LBB2_554
; %bb.539:                              ;   in Loop: Header=BB2_214 Depth=2
                                        ; implicit-def: $sgpr8
                                        ; implicit-def: $vgpr1
	s_mov_b32 s1, exec_lo
	v_cmpx_ne_u32_e32 6, v28
	s_xor_b32 s6, exec_lo, s1
	s_cbranch_execz .LBB2_551
; %bb.540:                              ;   in Loop: Header=BB2_214 Depth=2
	v_cmp_gt_i32_e32 vcc_lo, 7, v27
	s_waitcnt vmcnt(0)
	v_mov_b32_e32 v1, v0
	s_mov_b32 s7, exec_lo
                                        ; implicit-def: $sgpr8
	v_cmpx_lt_i32_e32 6, v27
	s_cbranch_execz .LBB2_550
; %bb.541:                              ;   in Loop: Header=BB2_214 Depth=2
	scratch_load_b32 v1, off, off offset:60
                                        ; implicit-def: $sgpr8
	s_waitcnt vmcnt(0)
	v_cmp_eq_u32_e64 s0, 7, v1
	v_cmp_ne_u32_e64 s1, 7, v1
	v_mov_b32_e32 v1, 0x46
	s_delay_alu instid0(VALU_DEP_2)
	s_and_saveexec_b32 s9, s1
	s_cbranch_execz .LBB2_549
; %bb.542:                              ;   in Loop: Header=BB2_214 Depth=2
	s_clause 0x1
	scratch_load_b32 v2, off, off offset:24
	scratch_load_b32 v3, off, off offset:40
	v_mov_b32_e32 v1, 0x46
	s_mov_b32 s10, exec_lo
                                        ; implicit-def: $sgpr8
	s_waitcnt vmcnt(0)
	v_cmp_eq_u32_e64 s1, v2, v3
	v_cmpx_ne_u32_e64 v2, v3
	s_cbranch_execz .LBB2_548
; %bb.543:                              ;   in Loop: Header=BB2_214 Depth=2
	v_mov_b32_e32 v1, v0
	s_mov_b32 s12, -1
	s_mov_b32 s11, exec_lo
                                        ; implicit-def: $sgpr8
	v_cmpx_le_u32_e64 v2, v3
	s_cbranch_execz .LBB2_547
; %bb.544:                              ;   in Loop: Header=BB2_214 Depth=2
	v_cmp_gt_u32_e64 s2, v3, v2
	v_mov_b32_e32 v1, v0
	s_mov_b32 s12, 0
	s_delay_alu instid0(VALU_DEP_2) | instskip(NEXT) | instid1(SALU_CYCLE_1)
	s_and_saveexec_b32 s8, s2
	s_xor_b32 s2, exec_lo, s8
	s_cbranch_execz .LBB2_546
; %bb.545:                              ;   in Loop: Header=BB2_214 Depth=2
	scratch_load_u8 v1, off, off offset:32
	s_mov_b32 s12, exec_lo
.LBB2_546:                              ;   in Loop: Header=BB2_214 Depth=2
	s_or_b32 exec_lo, exec_lo, s2
	s_movk_i32 s8, 0x58
	s_or_not1_b32 s12, s12, exec_lo
.LBB2_547:                              ;   in Loop: Header=BB2_214 Depth=2
	s_or_b32 exec_lo, exec_lo, s11
	s_delay_alu instid0(SALU_CYCLE_1) | instskip(SKIP_1) | instid1(SALU_CYCLE_1)
	s_and_not1_b32 s1, s1, exec_lo
	s_and_b32 s2, s12, exec_lo
	s_or_b32 s1, s1, s2
.LBB2_548:                              ;   in Loop: Header=BB2_214 Depth=2
	s_or_b32 exec_lo, exec_lo, s10
	s_delay_alu instid0(SALU_CYCLE_1) | instskip(SKIP_1) | instid1(SALU_CYCLE_1)
	s_and_not1_b32 s0, s0, exec_lo
	s_and_b32 s1, s1, exec_lo
	s_or_b32 s0, s0, s1
.LBB2_549:                              ;   in Loop: Header=BB2_214 Depth=2
	s_or_b32 exec_lo, exec_lo, s9
	s_delay_alu instid0(SALU_CYCLE_1) | instskip(SKIP_1) | instid1(SALU_CYCLE_1)
	s_and_not1_b32 s1, vcc_lo, exec_lo
	s_and_b32 s0, s0, exec_lo
	s_or_b32 vcc_lo, s1, s0
.LBB2_550:                              ;   in Loop: Header=BB2_214 Depth=2
	s_or_b32 exec_lo, exec_lo, s7
	s_delay_alu instid0(SALU_CYCLE_1)
	s_and_b32 s0, vcc_lo, exec_lo
                                        ; implicit-def: $vgpr27
.LBB2_551:                              ;   in Loop: Header=BB2_214 Depth=2
	s_or_saveexec_b32 s1, s6
	v_mov_b32_e32 v2, s8
	s_xor_b32 exec_lo, exec_lo, s1
	s_cbranch_execz .LBB2_553
; %bb.552:                              ;   in Loop: Header=BB2_214 Depth=2
	v_cmp_gt_i32_e32 vcc_lo, 4, v27
	s_waitcnt vmcnt(0)
	v_dual_mov_b32 v2, 0x58 :: v_dual_mov_b32 v1, v0
	s_and_not1_b32 s0, s0, exec_lo
	s_and_b32 s2, vcc_lo, exec_lo
	s_delay_alu instid0(SALU_CYCLE_1)
	s_or_b32 s0, s0, s2
.LBB2_553:                              ;   in Loop: Header=BB2_214 Depth=2
	s_or_b32 exec_lo, exec_lo, s1
	s_delay_alu instid0(SALU_CYCLE_1)
	s_and_b32 s0, s0, exec_lo
                                        ; implicit-def: $vgpr27
.LBB2_554:                              ;   in Loop: Header=BB2_214 Depth=2
	s_and_not1_saveexec_b32 s1, s5
	s_cbranch_execz .LBB2_556
; %bb.555:                              ;   in Loop: Header=BB2_214 Depth=2
	v_cmp_gt_i32_e32 vcc_lo, 3, v27
	s_waitcnt vmcnt(0)
	v_dual_mov_b32 v2, 0x58 :: v_dual_mov_b32 v1, v0
	s_and_not1_b32 s0, s0, exec_lo
	s_and_b32 s2, vcc_lo, exec_lo
	s_delay_alu instid0(SALU_CYCLE_1)
	s_or_b32 s0, s0, s2
.LBB2_556:                              ;   in Loop: Header=BB2_214 Depth=2
	s_or_b32 exec_lo, exec_lo, s1
	s_delay_alu instid0(SALU_CYCLE_1)
	s_and_b32 s0, s0, exec_lo
                                        ; implicit-def: $vgpr27
	s_and_not1_saveexec_b32 s1, s4
	s_cbranch_execz .LBB2_527
.LBB2_557:                              ;   in Loop: Header=BB2_214 Depth=2
	v_cmp_eq_u32_e32 vcc_lo, 0, v27
	s_waitcnt vmcnt(0)
	v_dual_mov_b32 v2, 0x58 :: v_dual_mov_b32 v1, v0
	s_and_not1_b32 s0, s0, exec_lo
	s_and_b32 s2, vcc_lo, exec_lo
	s_delay_alu instid0(SALU_CYCLE_1)
	s_or_b32 s0, s0, s2
	s_or_b32 exec_lo, exec_lo, s1
	s_and_saveexec_b32 s1, s0
	s_cbranch_execnz .LBB2_528
	s_branch .LBB2_529
.LBB2_558:                              ;   in Loop: Header=BB2_13 Depth=1
	s_or_b32 exec_lo, exec_lo, s14
	s_and_saveexec_b32 s0, s34
	s_cbranch_execz .LBB2_561
; %bb.559:                              ;   in Loop: Header=BB2_13 Depth=1
	v_mov_b32_e32 v0, v70
	v_dual_mov_b32 v52, v89 :: v_dual_mov_b32 v1, v71
	s_mov_b32 s1, 0
.LBB2_560:                              ;   Parent Loop BB2_13 Depth=1
                                        ; =>  This Inner Loop Header: Depth=2
	s_delay_alu instid0(VALU_DEP_2) | instskip(NEXT) | instid1(VALU_DEP_2)
	v_mad_u64_u32 v[2:3], null, v0, 24, v[62:63]
	v_cmp_le_u64_e32 vcc_lo, s[54:55], v[52:53]
	s_or_b32 s1, vcc_lo, s1
	s_delay_alu instid0(VALU_DEP_2) | instskip(NEXT) | instid1(VALU_DEP_1)
	v_mov_b32_e32 v0, v3
	v_mad_u64_u32 v[3:4], null, v1, 24, v[0:1]
	v_dual_mov_b32 v0, v52 :: v_dual_mov_b32 v1, v53
	v_add_nc_u32_e32 v52, 64, v52
	global_store_b32 v[2:3], v90, off offset:8
	s_and_not1_b32 exec_lo, exec_lo, s1
	s_cbranch_execnz .LBB2_560
.LBB2_561:                              ;   in Loop: Header=BB2_13 Depth=1
	s_or_b32 exec_lo, exec_lo, s0
	s_mov_b32 s4, -1
	s_mov_b32 s0, -1
	s_and_saveexec_b32 s5, s35
	s_cbranch_execz .LBB2_704
; %bb.562:                              ;   in Loop: Header=BB2_13 Depth=1
	v_sub_nc_u32_e32 v0, v81, v42
	v_max_i32_e32 v2, 1, v42
	s_mov_b64 s[2:3], 0
	s_mov_b32 s1, 0
	s_delay_alu instid0(VALU_DEP_2) | instskip(SKIP_1) | instid1(VALU_DEP_2)
	v_ashrrev_i32_e32 v1, 31, v0
	v_add_co_u32 v0, vcc_lo, v66, v0
	v_add_co_ci_u32_e32 v1, vcc_lo, v67, v1, vcc_lo
	.p2align	6
.LBB2_563:                              ;   Parent Loop BB2_13 Depth=1
                                        ; =>  This Inner Loop Header: Depth=2
	s_delay_alu instid0(VALU_DEP_2) | instskip(NEXT) | instid1(VALU_DEP_2)
	v_add_co_u32 v3, vcc_lo, v0, s2
	v_add_co_ci_u32_e32 v4, vcc_lo, s3, v1, vcc_lo
	global_load_u8 v5, v[3:4], off
	v_add_co_u32 v3, vcc_lo, v64, s2
	s_add_u32 s2, s2, 1
	v_add_co_ci_u32_e32 v4, vcc_lo, s3, v65, vcc_lo
	v_cmp_eq_u32_e64 s0, s2, v2
	s_addc_u32 s3, s3, 0
	s_delay_alu instid0(VALU_DEP_1)
	s_or_b32 s1, s0, s1
	s_waitcnt vmcnt(0)
	global_store_b8 v[3:4], v5, off
	s_and_not1_b32 exec_lo, exec_lo, s1
	s_cbranch_execnz .LBB2_563
; %bb.564:                              ;   in Loop: Header=BB2_13 Depth=1
	s_or_b32 exec_lo, exec_lo, s1
	s_delay_alu instid0(SALU_CYCLE_1)
	s_and_not1_b32 vcc_lo, exec_lo, s48
	s_cbranch_vccnz .LBB2_690
; %bb.565:                              ;   in Loop: Header=BB2_13 Depth=1
	v_mov_b32_e32 v40, v64
	v_xor_b32_e32 v5, 0x3fb0bb5f, v42
	v_dual_mov_b32 v7, 0x58 :: v_dual_add_nc_u32 v6, 4, v42
	v_dual_mov_b32 v4, 0 :: v_dual_mov_b32 v41, v65
	s_mov_b32 s6, 0
	s_mov_b32 s7, 0
	s_branch .LBB2_569
.LBB2_566:                              ;   in Loop: Header=BB2_569 Depth=2
	s_or_b32 exec_lo, exec_lo, s8
	s_delay_alu instid0(SALU_CYCLE_1)
	s_or_not1_b32 s1, s1, exec_lo
.LBB2_567:                              ;   in Loop: Header=BB2_569 Depth=2
	s_or_b32 exec_lo, exec_lo, s0
	s_delay_alu instid0(SALU_CYCLE_1)
	s_or_not1_b32 s1, s1, exec_lo
.LBB2_568:                              ;   in Loop: Header=BB2_569 Depth=2
	s_or_b32 exec_lo, exec_lo, s2
	s_add_i32 s7, s7, 1
	v_mov_b32_e32 v7, v2
	s_cmp_eq_u32 s7, s54
	s_cselect_b32 s0, -1, 0
	s_delay_alu instid0(SALU_CYCLE_1) | instskip(NEXT) | instid1(SALU_CYCLE_1)
	s_or_b32 s0, s1, s0
	s_and_b32 s0, exec_lo, s0
	s_delay_alu instid0(SALU_CYCLE_1) | instskip(NEXT) | instid1(SALU_CYCLE_1)
	s_or_b32 s6, s0, s6
	s_and_not1_b32 exec_lo, exec_lo, s6
	s_cbranch_execz .LBB2_689
.LBB2_569:                              ;   Parent Loop BB2_13 Depth=1
                                        ; =>  This Loop Header: Depth=2
                                        ;       Child Loop BB2_575 Depth 3
                                        ;       Child Loop BB2_594 Depth 3
	;; [unrolled: 1-line block ×3, first 2 shown]
                                        ;         Child Loop BB2_605 Depth 4
                                        ;       Child Loop BB2_619 Depth 3
                                        ;       Child Loop BB2_638 Depth 3
	;; [unrolled: 1-line block ×3, first 2 shown]
                                        ;         Child Loop BB2_649 Depth 4
	v_and_b32_e32 v8, 3, v40
                                        ; implicit-def: $vgpr12
	s_delay_alu instid0(VALU_DEP_1) | instskip(SKIP_1) | instid1(SALU_CYCLE_1)
	v_cmp_ne_u32_e32 vcc_lo, 0, v8
	s_and_saveexec_b32 s0, vcc_lo
	s_xor_b32 s2, exec_lo, s0
	s_cbranch_execz .LBB2_592
; %bb.570:                              ;   in Loop: Header=BB2_569 Depth=2
	v_mov_b32_e32 v0, 0
	s_mov_b32 s1, exec_lo
	v_cmpx_gt_i32_e32 3, v8
	s_cbranch_execz .LBB2_574
; %bb.571:                              ;   in Loop: Header=BB2_569 Depth=2
	v_mov_b32_e32 v0, 0
	s_mov_b32 s3, exec_lo
	v_cmpx_ne_u32_e32 2, v8
	s_cbranch_execz .LBB2_573
; %bb.572:                              ;   in Loop: Header=BB2_569 Depth=2
	global_load_u8 v0, v[40:41], off offset:2
	s_waitcnt vmcnt(0)
	v_lshlrev_b32_e32 v0, 16, v0
.LBB2_573:                              ;   in Loop: Header=BB2_569 Depth=2
	s_or_b32 exec_lo, exec_lo, s3
	global_load_u8 v1, v[40:41], off offset:1
	s_waitcnt vmcnt(0)
	v_lshl_or_b32 v0, v1, 8, v0
.LBB2_574:                              ;   in Loop: Header=BB2_569 Depth=2
	s_or_b32 exec_lo, exec_lo, s1
	global_load_u8 v1, v[40:41], off
	v_sub_nc_u32_e32 v2, 4, v8
	v_dual_mov_b32 v10, v5 :: v_dual_lshlrev_b32 v13, 3, v8
	v_add_nc_u32_e32 v11, v42, v8
	s_mov_b32 s3, 0
	s_delay_alu instid0(VALU_DEP_3) | instskip(SKIP_3) | instid1(VALU_DEP_1)
	v_lshlrev_b32_e32 v14, 3, v2
	s_waitcnt vmcnt(0)
	v_or_b32_e32 v3, v0, v1
	v_add_co_u32 v0, s0, v40, v2
	v_add_co_ci_u32_e64 v1, s0, 0, v41, s0
	s_delay_alu instid0(VALU_DEP_3)
	v_lshlrev_b32_e32 v2, v13, v3
	.p2align	6
.LBB2_575:                              ;   Parent Loop BB2_13 Depth=1
                                        ;     Parent Loop BB2_569 Depth=2
                                        ; =>    This Inner Loop Header: Depth=3
	global_load_b32 v9, v[0:1], off
	v_lshrrev_b32_e32 v2, v13, v2
	v_add_nc_u32_e32 v11, -4, v11
	v_add_co_u32 v0, s0, v0, 4
	s_delay_alu instid0(VALU_DEP_1) | instskip(SKIP_2) | instid1(VALU_DEP_1)
	v_add_co_ci_u32_e64 v1, s0, 0, v1, s0
	s_waitcnt vmcnt(0)
	v_lshl_or_b32 v2, v9, v14, v2
	v_mul_lo_u32 v2, 0x5bd1e995, v2
	s_delay_alu instid0(VALU_DEP_1) | instskip(NEXT) | instid1(VALU_DEP_1)
	v_lshrrev_b32_e32 v3, 24, v2
	v_xor_b32_e32 v2, v3, v2
	v_mul_lo_u32 v3, 0x5bd1e995, v10
	s_delay_alu instid0(VALU_DEP_2) | instskip(SKIP_2) | instid1(VALU_DEP_1)
	v_mul_lo_u32 v10, 0x5bd1e995, v2
	v_mov_b32_e32 v2, v9
	v_cmp_gt_u32_e64 s1, 8, v11
	s_or_b32 s3, s1, s3
	s_delay_alu instid0(VALU_DEP_3)
	v_xor_b32_e32 v10, v10, v3
	s_and_not1_b32 exec_lo, exec_lo, s3
	s_cbranch_execnz .LBB2_575
; %bb.576:                              ;   in Loop: Header=BB2_569 Depth=2
	s_or_b32 exec_lo, exec_lo, s3
	v_add_co_u32 v2, s0, v0, -4
	v_add_nc_u32_e32 v15, -4, v11
	v_add_co_ci_u32_e64 v3, s0, -1, v1, s0
	s_mov_b32 s1, exec_lo
                                        ; implicit-def: $vgpr12
	s_delay_alu instid0(VALU_DEP_2)
	v_cmpx_ge_i32_e64 v15, v8
	s_xor_b32 s1, exec_lo, s1
	s_cbranch_execz .LBB2_586
; %bb.577:                              ;   in Loop: Header=BB2_569 Depth=2
	v_cmp_lt_i32_e64 s0, 2, v8
	s_mov_b32 s3, 0
                                        ; implicit-def: $vgpr12
	s_delay_alu instid0(VALU_DEP_1) | instskip(NEXT) | instid1(SALU_CYCLE_1)
	s_and_saveexec_b32 s8, s0
	s_xor_b32 s0, exec_lo, s8
	s_cbranch_execnz .LBB2_665
; %bb.578:                              ;   in Loop: Header=BB2_569 Depth=2
	s_or_saveexec_b32 s8, s0
                                        ; implicit-def: $sgpr0
	s_delay_alu instid0(SALU_CYCLE_1)
	s_xor_b32 exec_lo, exec_lo, s8
	s_cbranch_execnz .LBB2_666
.LBB2_579:                              ;   in Loop: Header=BB2_569 Depth=2
	s_or_b32 exec_lo, exec_lo, s8
	v_mov_b32_e32 v16, s0
	s_and_saveexec_b32 s0, s3
	s_cbranch_execz .LBB2_581
.LBB2_580:                              ;   in Loop: Header=BB2_569 Depth=2
	global_load_u8 v16, v[2:3], off offset:5
	s_waitcnt vmcnt(0)
	v_lshl_or_b32 v16, v16, 8, v12
.LBB2_581:                              ;   in Loop: Header=BB2_569 Depth=2
	s_or_b32 exec_lo, exec_lo, s0
	global_load_u8 v12, v[0:1], off
	v_lshrrev_b32_e32 v13, v13, v9
	v_add_co_u32 v2, s0, v2, v8
	s_delay_alu instid0(VALU_DEP_1) | instskip(SKIP_4) | instid1(VALU_DEP_1)
	v_add_co_ci_u32_e64 v3, s0, 0, v3, s0
	s_mov_b32 s3, 0
	s_mov_b32 s8, exec_lo
	s_waitcnt vmcnt(0)
	v_or_b32_e32 v12, v16, v12
	v_lshl_or_b32 v12, v12, v14, v13
	v_mul_lo_u32 v14, 0x5bd1e995, v10
	s_delay_alu instid0(VALU_DEP_2) | instskip(NEXT) | instid1(VALU_DEP_1)
	v_mul_lo_u32 v12, 0x5bd1e995, v12
	v_lshrrev_b32_e32 v13, 24, v12
	s_delay_alu instid0(VALU_DEP_1) | instskip(SKIP_1) | instid1(VALU_DEP_2)
	v_xor_b32_e32 v12, v13, v12
	v_sub_nc_u32_e32 v13, v15, v8
	v_mul_lo_u32 v12, 0x5bd1e995, v12
	s_delay_alu instid0(VALU_DEP_1) | instskip(NEXT) | instid1(VALU_DEP_3)
	v_xor_b32_e32 v12, v12, v14
	v_cmpx_lt_i32_e32 1, v13
	s_xor_b32 s8, exec_lo, s8
	s_cbranch_execnz .LBB2_667
; %bb.582:                              ;   in Loop: Header=BB2_569 Depth=2
	s_and_not1_saveexec_b32 s8, s8
	s_cbranch_execnz .LBB2_670
.LBB2_583:                              ;   in Loop: Header=BB2_569 Depth=2
	s_or_b32 exec_lo, exec_lo, s8
	s_and_saveexec_b32 s0, s3
	s_cbranch_execz .LBB2_585
.LBB2_584:                              ;   in Loop: Header=BB2_569 Depth=2
	global_load_u8 v2, v[2:3], off offset:4
	s_waitcnt vmcnt(0)
	v_xor_b32_e32 v2, v12, v2
	s_delay_alu instid0(VALU_DEP_1)
	v_mul_lo_u32 v12, 0x5bd1e995, v2
.LBB2_585:                              ;   in Loop: Header=BB2_569 Depth=2
	s_or_b32 exec_lo, exec_lo, s0
                                        ; implicit-def: $vgpr13
                                        ; implicit-def: $vgpr14
                                        ; implicit-def: $vgpr2_vgpr3
.LBB2_586:                              ;   in Loop: Header=BB2_569 Depth=2
	s_and_not1_saveexec_b32 s1, s1
	s_cbranch_execz .LBB2_655
; %bb.587:                              ;   in Loop: Header=BB2_569 Depth=2
	v_cmp_lt_i32_e64 s0, 5, v11
	s_mov_b32 s3, 0
                                        ; implicit-def: $vgpr12
	s_delay_alu instid0(VALU_DEP_1) | instskip(NEXT) | instid1(SALU_CYCLE_1)
	s_and_saveexec_b32 s8, s0
	s_xor_b32 s0, exec_lo, s8
	s_cbranch_execnz .LBB2_671
; %bb.588:                              ;   in Loop: Header=BB2_569 Depth=2
	s_or_saveexec_b32 s8, s0
                                        ; implicit-def: $sgpr0
	s_delay_alu instid0(SALU_CYCLE_1)
	s_xor_b32 exec_lo, exec_lo, s8
	s_cbranch_execnz .LBB2_672
.LBB2_589:                              ;   in Loop: Header=BB2_569 Depth=2
	s_or_b32 exec_lo, exec_lo, s8
	v_mov_b32_e32 v2, s0
	s_and_saveexec_b32 s0, s3
	s_cbranch_execz .LBB2_591
.LBB2_590:                              ;   in Loop: Header=BB2_569 Depth=2
	global_load_u8 v0, v[0:1], off
	s_waitcnt vmcnt(0)
	v_or_b32_e32 v2, v12, v0
.LBB2_591:                              ;   in Loop: Header=BB2_569 Depth=2
	s_or_b32 exec_lo, exec_lo, s0
	v_lshrrev_b32_e32 v0, v13, v9
	s_delay_alu instid0(VALU_DEP_1) | instskip(NEXT) | instid1(VALU_DEP_1)
	v_lshl_or_b32 v0, v2, v14, v0
	v_xor_b32_e32 v0, v0, v10
	s_delay_alu instid0(VALU_DEP_1)
	v_mul_lo_u32 v12, 0x5bd1e995, v0
	s_or_b32 exec_lo, exec_lo, s1
.LBB2_592:                              ;   in Loop: Header=BB2_569 Depth=2
	s_and_not1_saveexec_b32 s2, s2
	s_cbranch_execz .LBB2_600
.LBB2_593:                              ;   in Loop: Header=BB2_569 Depth=2
	v_mov_b32_e32 v0, v40
	v_dual_mov_b32 v2, v6 :: v_dual_mov_b32 v1, v41
	v_mov_b32_e32 v12, v5
	s_mov_b32 s3, 0
	.p2align	6
.LBB2_594:                              ;   Parent Loop BB2_13 Depth=1
                                        ;     Parent Loop BB2_569 Depth=2
                                        ; =>    This Inner Loop Header: Depth=3
	global_load_b32 v3, v[0:1], off
	v_add_nc_u32_e32 v2, -4, v2
	v_add_co_u32 v0, s0, v0, 4
	s_delay_alu instid0(VALU_DEP_1) | instskip(NEXT) | instid1(VALU_DEP_3)
	v_add_co_ci_u32_e64 v1, s0, 0, v1, s0
	v_cmp_gt_u32_e64 s1, 8, v2
	s_delay_alu instid0(VALU_DEP_1) | instskip(SKIP_2) | instid1(VALU_DEP_1)
	s_or_b32 s3, s1, s3
	s_waitcnt vmcnt(0)
	v_mul_lo_u32 v3, 0x5bd1e995, v3
	v_lshrrev_b32_e32 v9, 24, v3
	s_delay_alu instid0(VALU_DEP_1) | instskip(SKIP_1) | instid1(VALU_DEP_2)
	v_xor_b32_e32 v3, v9, v3
	v_mul_lo_u32 v9, 0x5bd1e995, v12
	v_mul_lo_u32 v3, 0x5bd1e995, v3
	s_delay_alu instid0(VALU_DEP_1)
	v_xor_b32_e32 v12, v3, v9
	s_and_not1_b32 exec_lo, exec_lo, s3
	s_cbranch_execnz .LBB2_594
; %bb.595:                              ;   in Loop: Header=BB2_569 Depth=2
	s_or_b32 exec_lo, exec_lo, s3
	s_mov_b32 s1, 0
	s_mov_b32 s3, exec_lo
                                        ; implicit-def: $vgpr3
	v_cmpx_lt_i32_e32 5, v2
	s_xor_b32 s3, exec_lo, s3
	s_cbranch_execnz .LBB2_656
; %bb.596:                              ;   in Loop: Header=BB2_569 Depth=2
	s_and_not1_saveexec_b32 s3, s3
	s_cbranch_execnz .LBB2_659
.LBB2_597:                              ;   in Loop: Header=BB2_569 Depth=2
	s_or_b32 exec_lo, exec_lo, s3
	s_and_saveexec_b32 s0, s1
	s_cbranch_execz .LBB2_599
.LBB2_598:                              ;   in Loop: Header=BB2_569 Depth=2
	global_load_u8 v0, v[0:1], off
	s_waitcnt vmcnt(0)
	v_xor_b32_e32 v0, v3, v0
	s_delay_alu instid0(VALU_DEP_1)
	v_mul_lo_u32 v12, 0x5bd1e995, v0
.LBB2_599:                              ;   in Loop: Header=BB2_569 Depth=2
	s_or_b32 exec_lo, exec_lo, s0
.LBB2_600:                              ;   in Loop: Header=BB2_569 Depth=2
	s_delay_alu instid0(SALU_CYCLE_1) | instskip(NEXT) | instid1(VALU_DEP_1)
	s_or_b32 exec_lo, exec_lo, s2
	v_lshrrev_b32_e32 v0, 13, v12
	v_mov_b32_e32 v2, -1
	s_mov_b32 s1, exec_lo
	s_delay_alu instid0(VALU_DEP_2) | instskip(NEXT) | instid1(VALU_DEP_1)
	v_xor_b32_e32 v0, v0, v12
	v_mul_lo_u32 v0, 0x5bd1e995, v0
	s_delay_alu instid0(VALU_DEP_1) | instskip(NEXT) | instid1(VALU_DEP_1)
	v_lshrrev_b32_e32 v1, 15, v0
	v_xor_b32_e32 v0, v1, v0
	s_delay_alu instid0(VALU_DEP_1) | instskip(NEXT) | instid1(VALU_DEP_1)
	v_mul_hi_u32 v1, v0, v87
	v_mul_lo_u32 v1, v1, s54
	s_delay_alu instid0(VALU_DEP_1) | instskip(NEXT) | instid1(VALU_DEP_1)
	v_sub_nc_u32_e32 v0, v0, v1
	v_subrev_nc_u32_e32 v1, s54, v0
	v_cmp_le_u32_e64 s0, s54, v0
	s_delay_alu instid0(VALU_DEP_1) | instskip(NEXT) | instid1(VALU_DEP_1)
	v_cndmask_b32_e64 v0, v0, v1, s0
	v_subrev_nc_u32_e32 v1, s54, v0
	v_cmp_le_u32_e64 s0, s54, v0
	s_delay_alu instid0(VALU_DEP_1) | instskip(NEXT) | instid1(VALU_DEP_1)
	v_cndmask_b32_e64 v9, v0, v1, s0
	v_mad_u64_u32 v[0:1], null, v9, 24, v[62:63]
	global_load_b32 v10, v[0:1], off offset:8
	s_waitcnt vmcnt(0)
	v_cmpx_ne_u32_e32 -1, v10
	s_cbranch_execz .LBB2_612
; %bb.601:                              ;   in Loop: Header=BB2_569 Depth=2
	s_mov_b32 s8, 0
	s_branch .LBB2_603
.LBB2_602:                              ;   in Loop: Header=BB2_603 Depth=3
	s_or_b32 exec_lo, exec_lo, s3
	s_delay_alu instid0(SALU_CYCLE_1) | instskip(NEXT) | instid1(SALU_CYCLE_1)
	s_and_b32 s0, exec_lo, s2
	s_or_b32 s8, s0, s8
	s_delay_alu instid0(SALU_CYCLE_1)
	s_and_not1_b32 exec_lo, exec_lo, s8
	s_cbranch_execz .LBB2_611
.LBB2_603:                              ;   Parent Loop BB2_13 Depth=1
                                        ;     Parent Loop BB2_569 Depth=2
                                        ; =>    This Loop Header: Depth=3
                                        ;         Child Loop BB2_605 Depth 4
	global_load_b64 v[2:3], v[0:1], off
	s_mov_b64 s[2:3], 0
	s_mov_b32 s10, 0
                                        ; implicit-def: $sgpr9
                                        ; implicit-def: $sgpr12
                                        ; implicit-def: $sgpr11
	s_set_inst_prefetch_distance 0x1
	s_branch .LBB2_605
	.p2align	6
.LBB2_604:                              ;   in Loop: Header=BB2_605 Depth=4
	s_or_b32 exec_lo, exec_lo, s13
	s_xor_b32 s0, s11, -1
	s_and_b32 s13, exec_lo, s12
	s_delay_alu instid0(SALU_CYCLE_1) | instskip(SKIP_2) | instid1(SALU_CYCLE_1)
	s_or_b32 s10, s13, s10
	s_and_not1_b32 s9, s9, exec_lo
	s_and_b32 s0, s0, exec_lo
	s_or_b32 s9, s9, s0
	s_and_not1_b32 exec_lo, exec_lo, s10
	s_cbranch_execz .LBB2_607
.LBB2_605:                              ;   Parent Loop BB2_13 Depth=1
                                        ;     Parent Loop BB2_569 Depth=2
                                        ;       Parent Loop BB2_603 Depth=3
                                        ; =>      This Inner Loop Header: Depth=4
	s_waitcnt vmcnt(0)
	v_add_co_u32 v11, s0, v2, s2
	s_delay_alu instid0(VALU_DEP_1) | instskip(SKIP_1) | instid1(VALU_DEP_1)
	v_add_co_ci_u32_e64 v12, s0, s3, v3, s0
	v_add_co_u32 v13, s0, v40, s2
	v_add_co_ci_u32_e64 v14, s0, s3, v41, s0
	s_or_b32 s11, s11, exec_lo
	flat_load_u8 v11, v[11:12]
	global_load_u8 v12, v[13:14], off
	s_or_b32 s12, s12, exec_lo
	s_mov_b32 s13, exec_lo
	s_waitcnt vmcnt(0) lgkmcnt(0)
	v_cmpx_eq_u16_e64 v11, v12
	s_cbranch_execz .LBB2_604
; %bb.606:                              ;   in Loop: Header=BB2_605 Depth=4
	s_add_u32 s2, s2, 1
	s_addc_u32 s3, s3, 0
	v_cmp_eq_u32_e64 s0, s2, v42
	s_and_not1_b32 s12, s12, exec_lo
	s_and_not1_b32 s11, s11, exec_lo
	s_delay_alu instid0(VALU_DEP_1) | instskip(NEXT) | instid1(SALU_CYCLE_1)
	s_and_b32 s0, s0, exec_lo
	s_or_b32 s12, s12, s0
	s_branch .LBB2_604
.LBB2_607:                              ;   in Loop: Header=BB2_603 Depth=3
	s_set_inst_prefetch_distance 0x2
	s_or_b32 exec_lo, exec_lo, s10
	s_mov_b32 s2, -1
	s_mov_b32 s0, -1
	s_and_saveexec_b32 s3, s9
	s_delay_alu instid0(SALU_CYCLE_1)
	s_xor_b32 s3, exec_lo, s3
; %bb.608:                              ;   in Loop: Header=BB2_603 Depth=3
	v_cmp_ne_u32_e64 s0, v10, v42
	s_delay_alu instid0(VALU_DEP_1)
	s_or_not1_b32 s0, s0, exec_lo
; %bb.609:                              ;   in Loop: Header=BB2_603 Depth=3
	s_or_b32 exec_lo, exec_lo, s3
	v_mov_b32_e32 v2, v42
                                        ; implicit-def: $vgpr10
	s_and_saveexec_b32 s3, s0
	s_cbranch_execz .LBB2_602
; %bb.610:                              ;   in Loop: Header=BB2_603 Depth=3
	v_add_nc_u32_e32 v0, 1, v9
	v_mov_b32_e32 v2, -1
	s_delay_alu instid0(VALU_DEP_2) | instskip(NEXT) | instid1(VALU_DEP_1)
	v_cmp_ne_u32_e64 s0, s54, v0
	v_cndmask_b32_e64 v9, 0, v0, s0
	s_delay_alu instid0(VALU_DEP_1) | instskip(SKIP_3) | instid1(VALU_DEP_1)
	v_mad_u64_u32 v[0:1], null, v9, 24, v[62:63]
	global_load_b32 v10, v[0:1], off offset:8
	s_waitcnt vmcnt(0)
	v_cmp_eq_u32_e64 s0, -1, v10
	s_or_not1_b32 s2, s0, exec_lo
	s_branch .LBB2_602
.LBB2_611:                              ;   in Loop: Header=BB2_569 Depth=2
	s_or_b32 exec_lo, exec_lo, s8
.LBB2_612:                              ;   in Loop: Header=BB2_569 Depth=2
	s_delay_alu instid0(SALU_CYCLE_1) | instskip(SKIP_3) | instid1(VALU_DEP_2)
	s_or_b32 exec_lo, exec_lo, s1
	v_cmp_eq_u32_e64 s0, -1, v2
	v_mov_b32_e32 v2, 0x52
	s_mov_b32 s1, -1
	s_and_saveexec_b32 s2, s0
	s_cbranch_execz .LBB2_568
; %bb.613:                              ;   in Loop: Header=BB2_569 Depth=2
	s_clause 0x1
	global_store_b96 v[0:1], v[40:42], off
	global_store_b8 v[0:1], v55, off offset:16
                                        ; implicit-def: $vgpr12
	s_and_saveexec_b32 s0, vcc_lo
	s_delay_alu instid0(SALU_CYCLE_1)
	s_xor_b32 s1, exec_lo, s0
	s_cbranch_execz .LBB2_636
; %bb.614:                              ;   in Loop: Header=BB2_569 Depth=2
	v_mov_b32_e32 v0, 0
	s_mov_b32 s0, exec_lo
	v_cmpx_gt_i32_e32 3, v8
	s_cbranch_execz .LBB2_618
; %bb.615:                              ;   in Loop: Header=BB2_569 Depth=2
	v_mov_b32_e32 v0, 0
	s_mov_b32 s3, exec_lo
	v_cmpx_ne_u32_e32 2, v8
	s_cbranch_execz .LBB2_617
; %bb.616:                              ;   in Loop: Header=BB2_569 Depth=2
	global_load_u8 v0, v[40:41], off offset:2
	s_waitcnt vmcnt(0)
	v_lshlrev_b32_e32 v0, 16, v0
.LBB2_617:                              ;   in Loop: Header=BB2_569 Depth=2
	s_or_b32 exec_lo, exec_lo, s3
	global_load_u8 v1, v[40:41], off offset:1
	s_waitcnt vmcnt(0)
	v_lshl_or_b32 v0, v1, 8, v0
.LBB2_618:                              ;   in Loop: Header=BB2_569 Depth=2
	s_or_b32 exec_lo, exec_lo, s0
	global_load_u8 v1, v[40:41], off
	v_sub_nc_u32_e32 v2, 4, v8
	v_dual_mov_b32 v10, v5 :: v_dual_lshlrev_b32 v13, 3, v8
	v_add_nc_u32_e32 v11, v42, v8
	s_mov_b32 s3, 0
	s_delay_alu instid0(VALU_DEP_3) | instskip(SKIP_4) | instid1(VALU_DEP_3)
	v_lshlrev_b32_e32 v14, 3, v2
	s_waitcnt vmcnt(0)
	v_or_b32_e32 v3, v0, v1
	v_add_co_u32 v0, vcc_lo, v40, v2
	v_add_co_ci_u32_e32 v1, vcc_lo, 0, v41, vcc_lo
	v_lshlrev_b32_e32 v2, v13, v3
	.p2align	6
.LBB2_619:                              ;   Parent Loop BB2_13 Depth=1
                                        ;     Parent Loop BB2_569 Depth=2
                                        ; =>    This Inner Loop Header: Depth=3
	global_load_b32 v9, v[0:1], off
	v_lshrrev_b32_e32 v2, v13, v2
	v_add_nc_u32_e32 v11, -4, v11
	v_add_co_u32 v0, vcc_lo, v0, 4
	v_add_co_ci_u32_e32 v1, vcc_lo, 0, v1, vcc_lo
	s_waitcnt vmcnt(0)
	v_lshl_or_b32 v2, v9, v14, v2
	s_delay_alu instid0(VALU_DEP_1) | instskip(NEXT) | instid1(VALU_DEP_1)
	v_mul_lo_u32 v2, 0x5bd1e995, v2
	v_lshrrev_b32_e32 v3, 24, v2
	s_delay_alu instid0(VALU_DEP_1) | instskip(SKIP_1) | instid1(VALU_DEP_2)
	v_xor_b32_e32 v2, v3, v2
	v_mul_lo_u32 v3, 0x5bd1e995, v10
	v_mul_lo_u32 v10, 0x5bd1e995, v2
	v_mov_b32_e32 v2, v9
	v_cmp_gt_u32_e64 s0, 8, v11
	s_delay_alu instid0(VALU_DEP_1) | instskip(NEXT) | instid1(VALU_DEP_3)
	s_or_b32 s3, s0, s3
	v_xor_b32_e32 v10, v10, v3
	s_and_not1_b32 exec_lo, exec_lo, s3
	s_cbranch_execnz .LBB2_619
; %bb.620:                              ;   in Loop: Header=BB2_569 Depth=2
	s_or_b32 exec_lo, exec_lo, s3
	v_add_co_u32 v2, vcc_lo, v0, -4
	v_add_nc_u32_e32 v15, -4, v11
	v_add_co_ci_u32_e32 v3, vcc_lo, -1, v1, vcc_lo
	s_mov_b32 s0, exec_lo
                                        ; implicit-def: $vgpr12
	s_delay_alu instid0(VALU_DEP_2)
	v_cmpx_ge_i32_e64 v15, v8
	s_xor_b32 s0, exec_lo, s0
	s_cbranch_execz .LBB2_630
; %bb.621:                              ;   in Loop: Header=BB2_569 Depth=2
	s_mov_b32 s3, 0
	s_mov_b32 s8, exec_lo
                                        ; implicit-def: $vgpr12
	v_cmpx_lt_i32_e32 2, v8
	s_xor_b32 s8, exec_lo, s8
	s_cbranch_execnz .LBB2_681
; %bb.622:                              ;   in Loop: Header=BB2_569 Depth=2
	s_or_saveexec_b32 s8, s8
                                        ; implicit-def: $sgpr9
	s_delay_alu instid0(SALU_CYCLE_1)
	s_xor_b32 exec_lo, exec_lo, s8
	s_cbranch_execnz .LBB2_682
.LBB2_623:                              ;   in Loop: Header=BB2_569 Depth=2
	s_or_b32 exec_lo, exec_lo, s8
	v_mov_b32_e32 v16, s9
	s_and_saveexec_b32 s8, s3
	s_cbranch_execz .LBB2_625
.LBB2_624:                              ;   in Loop: Header=BB2_569 Depth=2
	global_load_u8 v16, v[2:3], off offset:5
	s_waitcnt vmcnt(0)
	v_lshl_or_b32 v16, v16, 8, v12
.LBB2_625:                              ;   in Loop: Header=BB2_569 Depth=2
	s_or_b32 exec_lo, exec_lo, s8
	global_load_u8 v12, v[0:1], off
	v_lshrrev_b32_e32 v13, v13, v9
	v_add_co_u32 v2, vcc_lo, v2, v8
	v_add_co_ci_u32_e32 v3, vcc_lo, 0, v3, vcc_lo
	s_mov_b32 s3, 0
	s_mov_b32 s8, exec_lo
	s_waitcnt vmcnt(0)
	v_or_b32_e32 v12, v16, v12
	s_delay_alu instid0(VALU_DEP_1) | instskip(SKIP_1) | instid1(VALU_DEP_2)
	v_lshl_or_b32 v12, v12, v14, v13
	v_mul_lo_u32 v14, 0x5bd1e995, v10
	v_mul_lo_u32 v12, 0x5bd1e995, v12
	s_delay_alu instid0(VALU_DEP_1) | instskip(NEXT) | instid1(VALU_DEP_1)
	v_lshrrev_b32_e32 v13, 24, v12
	v_xor_b32_e32 v12, v13, v12
	v_sub_nc_u32_e32 v13, v15, v8
	s_delay_alu instid0(VALU_DEP_2) | instskip(NEXT) | instid1(VALU_DEP_1)
	v_mul_lo_u32 v12, 0x5bd1e995, v12
	v_xor_b32_e32 v12, v12, v14
	s_delay_alu instid0(VALU_DEP_3)
	v_cmpx_lt_i32_e32 1, v13
	s_xor_b32 s8, exec_lo, s8
	s_cbranch_execnz .LBB2_683
; %bb.626:                              ;   in Loop: Header=BB2_569 Depth=2
	s_and_not1_saveexec_b32 s8, s8
	s_cbranch_execnz .LBB2_686
.LBB2_627:                              ;   in Loop: Header=BB2_569 Depth=2
	s_or_b32 exec_lo, exec_lo, s8
	s_and_saveexec_b32 s8, s3
	s_cbranch_execz .LBB2_629
.LBB2_628:                              ;   in Loop: Header=BB2_569 Depth=2
	global_load_u8 v2, v[2:3], off offset:4
	s_waitcnt vmcnt(0)
	v_xor_b32_e32 v2, v12, v2
	s_delay_alu instid0(VALU_DEP_1)
	v_mul_lo_u32 v12, 0x5bd1e995, v2
.LBB2_629:                              ;   in Loop: Header=BB2_569 Depth=2
	s_or_b32 exec_lo, exec_lo, s8
                                        ; implicit-def: $vgpr13
                                        ; implicit-def: $vgpr14
                                        ; implicit-def: $vgpr2_vgpr3
.LBB2_630:                              ;   in Loop: Header=BB2_569 Depth=2
	s_and_not1_saveexec_b32 s0, s0
	s_cbranch_execz .LBB2_673
; %bb.631:                              ;   in Loop: Header=BB2_569 Depth=2
	s_mov_b32 s3, 0
	s_mov_b32 s8, exec_lo
                                        ; implicit-def: $vgpr8
	v_cmpx_lt_i32_e32 5, v11
	s_xor_b32 s8, exec_lo, s8
	s_cbranch_execnz .LBB2_687
; %bb.632:                              ;   in Loop: Header=BB2_569 Depth=2
	s_or_saveexec_b32 s8, s8
                                        ; implicit-def: $sgpr9
	s_delay_alu instid0(SALU_CYCLE_1)
	s_xor_b32 exec_lo, exec_lo, s8
	s_cbranch_execnz .LBB2_688
.LBB2_633:                              ;   in Loop: Header=BB2_569 Depth=2
	s_or_b32 exec_lo, exec_lo, s8
	v_mov_b32_e32 v2, s9
	s_and_saveexec_b32 s8, s3
	s_cbranch_execz .LBB2_635
.LBB2_634:                              ;   in Loop: Header=BB2_569 Depth=2
	global_load_u8 v0, v[0:1], off
	s_waitcnt vmcnt(0)
	v_or_b32_e32 v2, v8, v0
.LBB2_635:                              ;   in Loop: Header=BB2_569 Depth=2
	s_or_b32 exec_lo, exec_lo, s8
	v_lshrrev_b32_e32 v0, v13, v9
	s_delay_alu instid0(VALU_DEP_1) | instskip(NEXT) | instid1(VALU_DEP_1)
	v_lshl_or_b32 v0, v2, v14, v0
	v_xor_b32_e32 v0, v0, v10
	s_delay_alu instid0(VALU_DEP_1)
	v_mul_lo_u32 v12, 0x5bd1e995, v0
	s_or_b32 exec_lo, exec_lo, s0
.LBB2_636:                              ;   in Loop: Header=BB2_569 Depth=2
	s_and_not1_saveexec_b32 s1, s1
	s_cbranch_execz .LBB2_644
.LBB2_637:                              ;   in Loop: Header=BB2_569 Depth=2
	v_mov_b32_e32 v0, v40
	v_dual_mov_b32 v2, v6 :: v_dual_mov_b32 v1, v41
	v_mov_b32_e32 v12, v5
	s_mov_b32 s3, 0
	.p2align	6
.LBB2_638:                              ;   Parent Loop BB2_13 Depth=1
                                        ;     Parent Loop BB2_569 Depth=2
                                        ; =>    This Inner Loop Header: Depth=3
	global_load_b32 v3, v[0:1], off
	v_add_nc_u32_e32 v2, -4, v2
	v_add_co_u32 v0, vcc_lo, v0, 4
	v_add_co_ci_u32_e32 v1, vcc_lo, 0, v1, vcc_lo
	s_delay_alu instid0(VALU_DEP_3) | instskip(NEXT) | instid1(VALU_DEP_1)
	v_cmp_gt_u32_e64 s0, 8, v2
	s_or_b32 s3, s0, s3
	s_waitcnt vmcnt(0)
	v_mul_lo_u32 v3, 0x5bd1e995, v3
	s_delay_alu instid0(VALU_DEP_1) | instskip(NEXT) | instid1(VALU_DEP_1)
	v_lshrrev_b32_e32 v8, 24, v3
	v_xor_b32_e32 v3, v8, v3
	v_mul_lo_u32 v8, 0x5bd1e995, v12
	s_delay_alu instid0(VALU_DEP_2) | instskip(NEXT) | instid1(VALU_DEP_1)
	v_mul_lo_u32 v3, 0x5bd1e995, v3
	v_xor_b32_e32 v12, v3, v8
	s_and_not1_b32 exec_lo, exec_lo, s3
	s_cbranch_execnz .LBB2_638
; %bb.639:                              ;   in Loop: Header=BB2_569 Depth=2
	s_or_b32 exec_lo, exec_lo, s3
	s_mov_b32 s0, 0
	s_mov_b32 s3, exec_lo
                                        ; implicit-def: $vgpr3
	v_cmpx_lt_i32_e32 5, v2
	s_xor_b32 s3, exec_lo, s3
	s_cbranch_execnz .LBB2_674
; %bb.640:                              ;   in Loop: Header=BB2_569 Depth=2
	s_and_not1_saveexec_b32 s3, s3
	s_cbranch_execnz .LBB2_677
.LBB2_641:                              ;   in Loop: Header=BB2_569 Depth=2
	s_or_b32 exec_lo, exec_lo, s3
	s_and_saveexec_b32 s3, s0
	s_cbranch_execz .LBB2_643
.LBB2_642:                              ;   in Loop: Header=BB2_569 Depth=2
	global_load_u8 v0, v[0:1], off
	s_waitcnt vmcnt(0)
	v_xor_b32_e32 v0, v3, v0
	s_delay_alu instid0(VALU_DEP_1)
	v_mul_lo_u32 v12, 0x5bd1e995, v0
.LBB2_643:                              ;   in Loop: Header=BB2_569 Depth=2
	s_or_b32 exec_lo, exec_lo, s3
.LBB2_644:                              ;   in Loop: Header=BB2_569 Depth=2
	s_delay_alu instid0(SALU_CYCLE_1) | instskip(NEXT) | instid1(VALU_DEP_1)
	s_or_b32 exec_lo, exec_lo, s1
	v_lshrrev_b32_e32 v0, 13, v12
	v_mov_b32_e32 v2, -1
	s_mov_b32 s3, exec_lo
	s_delay_alu instid0(VALU_DEP_2) | instskip(NEXT) | instid1(VALU_DEP_1)
	v_xor_b32_e32 v0, v0, v12
	v_mul_lo_u32 v0, 0x5bd1e995, v0
	s_delay_alu instid0(VALU_DEP_1) | instskip(NEXT) | instid1(VALU_DEP_1)
	v_lshrrev_b32_e32 v1, 15, v0
	v_xor_b32_e32 v0, v1, v0
	s_delay_alu instid0(VALU_DEP_1) | instskip(NEXT) | instid1(VALU_DEP_1)
	v_mul_hi_u32 v1, v0, v88
	v_mul_lo_u32 v1, v1, v45
	s_delay_alu instid0(VALU_DEP_1) | instskip(NEXT) | instid1(VALU_DEP_1)
	v_sub_nc_u32_e32 v0, v0, v1
	v_sub_nc_u32_e32 v1, v0, v45
	v_cmp_ge_u32_e32 vcc_lo, v0, v45
	s_delay_alu instid0(VALU_DEP_2) | instskip(NEXT) | instid1(VALU_DEP_1)
	v_cndmask_b32_e32 v0, v0, v1, vcc_lo
	v_sub_nc_u32_e32 v1, v0, v45
	v_cmp_ge_u32_e32 vcc_lo, v0, v45
	s_delay_alu instid0(VALU_DEP_2) | instskip(NEXT) | instid1(VALU_DEP_1)
	v_cndmask_b32_e32 v8, v0, v1, vcc_lo
	v_mad_u64_u32 v[0:1], null, v8, 56, v[43:44]
	global_load_b32 v9, v[0:1], off offset:8
	s_waitcnt vmcnt(0)
	v_cmpx_ne_u32_e32 -1, v9
	s_cbranch_execz .LBB2_661
; %bb.645:                              ;   in Loop: Header=BB2_569 Depth=2
	s_mov_b32 s8, 0
	s_branch .LBB2_647
.LBB2_646:                              ;   in Loop: Header=BB2_647 Depth=3
	s_or_b32 exec_lo, exec_lo, s9
	s_delay_alu instid0(SALU_CYCLE_1) | instskip(NEXT) | instid1(SALU_CYCLE_1)
	s_and_b32 s0, exec_lo, s0
	s_or_b32 s8, s0, s8
	s_delay_alu instid0(SALU_CYCLE_1)
	s_and_not1_b32 exec_lo, exec_lo, s8
	s_cbranch_execz .LBB2_660
.LBB2_647:                              ;   Parent Loop BB2_13 Depth=1
                                        ;     Parent Loop BB2_569 Depth=2
                                        ; =>    This Loop Header: Depth=3
                                        ;         Child Loop BB2_649 Depth 4
	global_load_b64 v[2:3], v[0:1], off
	s_mov_b64 s[0:1], 0
	s_mov_b32 s10, 0
                                        ; implicit-def: $sgpr9
                                        ; implicit-def: $sgpr12
                                        ; implicit-def: $sgpr11
	s_set_inst_prefetch_distance 0x1
	s_branch .LBB2_649
	.p2align	6
.LBB2_648:                              ;   in Loop: Header=BB2_649 Depth=4
	s_or_b32 exec_lo, exec_lo, s13
	s_xor_b32 s13, s11, -1
	s_and_b32 s14, exec_lo, s12
	s_delay_alu instid0(SALU_CYCLE_1) | instskip(SKIP_2) | instid1(SALU_CYCLE_1)
	s_or_b32 s10, s14, s10
	s_and_not1_b32 s9, s9, exec_lo
	s_and_b32 s13, s13, exec_lo
	s_or_b32 s9, s9, s13
	s_and_not1_b32 exec_lo, exec_lo, s10
	s_cbranch_execz .LBB2_651
.LBB2_649:                              ;   Parent Loop BB2_13 Depth=1
                                        ;     Parent Loop BB2_569 Depth=2
                                        ;       Parent Loop BB2_647 Depth=3
                                        ; =>      This Inner Loop Header: Depth=4
	s_waitcnt vmcnt(0)
	v_add_co_u32 v10, vcc_lo, v2, s0
	v_add_co_ci_u32_e32 v11, vcc_lo, s1, v3, vcc_lo
	v_add_co_u32 v12, vcc_lo, v40, s0
	v_add_co_ci_u32_e32 v13, vcc_lo, s1, v41, vcc_lo
	s_or_b32 s11, s11, exec_lo
	flat_load_u8 v10, v[10:11]
	global_load_u8 v11, v[12:13], off
	s_or_b32 s12, s12, exec_lo
	s_mov_b32 s13, exec_lo
	s_waitcnt vmcnt(0) lgkmcnt(0)
	v_cmpx_eq_u16_e64 v10, v11
	s_cbranch_execz .LBB2_648
; %bb.650:                              ;   in Loop: Header=BB2_649 Depth=4
	s_add_u32 s0, s0, 1
	s_addc_u32 s1, s1, 0
	v_cmp_eq_u32_e32 vcc_lo, s0, v42
	s_and_not1_b32 s12, s12, exec_lo
	s_and_not1_b32 s11, s11, exec_lo
	s_and_b32 s14, vcc_lo, exec_lo
	s_delay_alu instid0(SALU_CYCLE_1)
	s_or_b32 s12, s12, s14
	s_branch .LBB2_648
.LBB2_651:                              ;   in Loop: Header=BB2_647 Depth=3
	s_set_inst_prefetch_distance 0x2
	s_or_b32 exec_lo, exec_lo, s10
	s_mov_b32 s0, -1
	s_mov_b32 s1, -1
	s_and_saveexec_b32 s10, s9
	s_delay_alu instid0(SALU_CYCLE_1)
	s_xor_b32 s9, exec_lo, s10
; %bb.652:                              ;   in Loop: Header=BB2_647 Depth=3
	v_cmp_ne_u32_e32 vcc_lo, v9, v42
	s_or_not1_b32 s1, vcc_lo, exec_lo
; %bb.653:                              ;   in Loop: Header=BB2_647 Depth=3
	s_or_b32 exec_lo, exec_lo, s9
	v_mov_b32_e32 v2, v42
                                        ; implicit-def: $vgpr9
	s_and_saveexec_b32 s9, s1
	s_cbranch_execz .LBB2_646
; %bb.654:                              ;   in Loop: Header=BB2_647 Depth=3
	v_add_nc_u32_e32 v0, 1, v8
	v_mov_b32_e32 v2, -1
	s_delay_alu instid0(VALU_DEP_2) | instskip(SKIP_1) | instid1(VALU_DEP_1)
	v_cmp_ne_u32_e32 vcc_lo, v0, v45
	v_cndmask_b32_e32 v8, 0, v0, vcc_lo
	v_mad_u64_u32 v[0:1], null, v8, 56, v[43:44]
	global_load_b32 v9, v[0:1], off offset:8
	s_waitcnt vmcnt(0)
	v_cmp_eq_u32_e32 vcc_lo, -1, v9
	s_or_not1_b32 s0, vcc_lo, exec_lo
	s_branch .LBB2_646
.LBB2_655:                              ;   in Loop: Header=BB2_569 Depth=2
	s_or_b32 exec_lo, exec_lo, s1
	s_and_not1_saveexec_b32 s2, s2
	s_cbranch_execnz .LBB2_593
	s_branch .LBB2_600
.LBB2_656:                              ;   in Loop: Header=BB2_569 Depth=2
	v_mov_b32_e32 v3, v12
	s_mov_b32 s1, exec_lo
	v_cmpx_lt_i32_e32 6, v2
	s_cbranch_execz .LBB2_658
; %bb.657:                              ;   in Loop: Header=BB2_569 Depth=2
	global_load_u8 v3, v[0:1], off offset:2
	s_waitcnt vmcnt(0)
	v_lshlrev_b32_e32 v3, 16, v3
	s_delay_alu instid0(VALU_DEP_1)
	v_xor_b32_e32 v3, v3, v12
.LBB2_658:                              ;   in Loop: Header=BB2_569 Depth=2
	s_or_b32 exec_lo, exec_lo, s1
	global_load_u8 v9, v[0:1], off offset:1
	s_mov_b32 s1, exec_lo
	s_waitcnt vmcnt(0)
	v_lshlrev_b32_e32 v9, 8, v9
	s_delay_alu instid0(VALU_DEP_1)
	v_xor_b32_e32 v3, v9, v3
	s_and_not1_saveexec_b32 s3, s3
	s_cbranch_execz .LBB2_597
.LBB2_659:                              ;   in Loop: Header=BB2_569 Depth=2
	v_cmp_eq_u32_e64 s0, 5, v2
	v_mov_b32_e32 v3, v12
	s_and_not1_b32 s1, s1, exec_lo
	s_delay_alu instid0(VALU_DEP_2) | instskip(NEXT) | instid1(SALU_CYCLE_1)
	s_and_b32 s0, s0, exec_lo
	s_or_b32 s1, s1, s0
	s_or_b32 exec_lo, exec_lo, s3
	s_and_saveexec_b32 s0, s1
	s_cbranch_execnz .LBB2_598
	s_branch .LBB2_599
.LBB2_660:                              ;   in Loop: Header=BB2_569 Depth=2
	s_or_b32 exec_lo, exec_lo, s8
.LBB2_661:                              ;   in Loop: Header=BB2_569 Depth=2
	s_delay_alu instid0(SALU_CYCLE_1)
	s_or_b32 exec_lo, exec_lo, s3
	v_cmp_ne_u32_e32 vcc_lo, -1, v2
	v_mov_b32_e32 v2, 0x58
	s_mov_b32 s1, -1
	s_and_saveexec_b32 s0, vcc_lo
	s_cbranch_execz .LBB2_567
; %bb.662:                              ;   in Loop: Header=BB2_569 Depth=2
	global_load_u8 v2, v[0:1], off offset:48
	s_mov_b32 s3, 0
	s_mov_b32 s8, exec_lo
                                        ; implicit-def: $sgpr1
	s_waitcnt vmcnt(0)
	v_cmpx_lt_i16_e32 0x57, v2
	s_xor_b32 s8, exec_lo, s8
	s_cbranch_execnz .LBB2_678
; %bb.663:                              ;   in Loop: Header=BB2_569 Depth=2
	s_and_not1_saveexec_b32 s8, s8
	s_cbranch_execnz .LBB2_679
.LBB2_664:                              ;   in Loop: Header=BB2_569 Depth=2
	s_or_b32 exec_lo, exec_lo, s8
	s_and_saveexec_b32 s8, s3
	s_cbranch_execz .LBB2_566
	s_branch .LBB2_680
.LBB2_665:                              ;   in Loop: Header=BB2_569 Depth=2
	global_load_u8 v12, v[2:3], off offset:6
	s_mov_b32 s3, exec_lo
	s_waitcnt vmcnt(0)
	v_lshlrev_b32_e32 v12, 16, v12
	s_or_saveexec_b32 s8, s0
                                        ; implicit-def: $sgpr0
	s_delay_alu instid0(SALU_CYCLE_1)
	s_xor_b32 exec_lo, exec_lo, s8
	s_cbranch_execz .LBB2_579
.LBB2_666:                              ;   in Loop: Header=BB2_569 Depth=2
	v_cmp_eq_u32_e64 s0, 2, v8
	v_mov_b32_e32 v12, 0
	s_and_not1_b32 s3, s3, exec_lo
	s_delay_alu instid0(VALU_DEP_2)
	s_and_b32 s9, s0, exec_lo
	s_mov_b32 s0, 0
	s_or_b32 s3, s3, s9
	s_or_b32 exec_lo, exec_lo, s8
	v_mov_b32_e32 v16, s0
	s_and_saveexec_b32 s0, s3
	s_cbranch_execnz .LBB2_580
	s_branch .LBB2_581
.LBB2_667:                              ;   in Loop: Header=BB2_569 Depth=2
	s_mov_b32 s9, exec_lo
	v_cmpx_eq_u32_e32 2, v13
	s_cbranch_execz .LBB2_669
; %bb.668:                              ;   in Loop: Header=BB2_569 Depth=2
	global_load_u8 v13, v[2:3], off offset:5
	s_mov_b32 s3, exec_lo
	s_waitcnt vmcnt(0)
	v_lshlrev_b32_e32 v13, 8, v13
	s_delay_alu instid0(VALU_DEP_1)
	v_xor_b32_e32 v12, v13, v12
.LBB2_669:                              ;   in Loop: Header=BB2_569 Depth=2
	s_or_b32 exec_lo, exec_lo, s9
	s_delay_alu instid0(SALU_CYCLE_1)
	s_and_b32 s3, s3, exec_lo
                                        ; implicit-def: $vgpr13
	s_and_not1_saveexec_b32 s8, s8
	s_cbranch_execz .LBB2_583
.LBB2_670:                              ;   in Loop: Header=BB2_569 Depth=2
	v_cmp_eq_u32_e64 s0, 1, v13
	s_and_not1_b32 s3, s3, exec_lo
	s_delay_alu instid0(VALU_DEP_1) | instskip(NEXT) | instid1(SALU_CYCLE_1)
	s_and_b32 s0, s0, exec_lo
	s_or_b32 s3, s3, s0
	s_or_b32 exec_lo, exec_lo, s8
	s_and_saveexec_b32 s0, s3
	s_cbranch_execnz .LBB2_584
	s_branch .LBB2_585
.LBB2_671:                              ;   in Loop: Header=BB2_569 Depth=2
	global_load_u8 v2, v[2:3], off offset:5
	s_mov_b32 s3, exec_lo
	s_waitcnt vmcnt(0)
	v_lshlrev_b32_e32 v12, 8, v2
	s_or_saveexec_b32 s8, s0
                                        ; implicit-def: $sgpr0
	s_delay_alu instid0(SALU_CYCLE_1)
	s_xor_b32 exec_lo, exec_lo, s8
	s_cbranch_execz .LBB2_589
.LBB2_672:                              ;   in Loop: Header=BB2_569 Depth=2
	v_cmp_eq_u32_e64 s0, 5, v11
	v_mov_b32_e32 v12, 0
	s_and_not1_b32 s3, s3, exec_lo
	s_delay_alu instid0(VALU_DEP_2)
	s_and_b32 s9, s0, exec_lo
	s_mov_b32 s0, 0
	s_or_b32 s3, s3, s9
	s_or_b32 exec_lo, exec_lo, s8
	v_mov_b32_e32 v2, s0
	s_and_saveexec_b32 s0, s3
	s_cbranch_execnz .LBB2_590
	s_branch .LBB2_591
.LBB2_673:                              ;   in Loop: Header=BB2_569 Depth=2
	s_or_b32 exec_lo, exec_lo, s0
	s_and_not1_saveexec_b32 s1, s1
	s_cbranch_execnz .LBB2_637
	s_branch .LBB2_644
.LBB2_674:                              ;   in Loop: Header=BB2_569 Depth=2
	v_mov_b32_e32 v3, v12
	s_mov_b32 s0, exec_lo
	v_cmpx_lt_i32_e32 6, v2
	s_cbranch_execz .LBB2_676
; %bb.675:                              ;   in Loop: Header=BB2_569 Depth=2
	global_load_u8 v3, v[0:1], off offset:2
	s_waitcnt vmcnt(0)
	v_lshlrev_b32_e32 v3, 16, v3
	s_delay_alu instid0(VALU_DEP_1)
	v_xor_b32_e32 v3, v3, v12
.LBB2_676:                              ;   in Loop: Header=BB2_569 Depth=2
	s_or_b32 exec_lo, exec_lo, s0
	global_load_u8 v8, v[0:1], off offset:1
	s_mov_b32 s0, exec_lo
	s_waitcnt vmcnt(0)
	v_lshlrev_b32_e32 v8, 8, v8
	s_delay_alu instid0(VALU_DEP_1)
	v_xor_b32_e32 v3, v8, v3
	s_and_not1_saveexec_b32 s3, s3
	s_cbranch_execz .LBB2_641
.LBB2_677:                              ;   in Loop: Header=BB2_569 Depth=2
	v_cmp_eq_u32_e32 vcc_lo, 5, v2
	v_mov_b32_e32 v3, v12
	s_and_not1_b32 s0, s0, exec_lo
	s_and_b32 s8, vcc_lo, exec_lo
	s_delay_alu instid0(SALU_CYCLE_1)
	s_or_b32 s0, s0, s8
	s_or_b32 exec_lo, exec_lo, s3
	s_and_saveexec_b32 s3, s0
	s_cbranch_execnz .LBB2_642
	s_branch .LBB2_643
.LBB2_678:                              ;   in Loop: Header=BB2_569 Depth=2
	v_cmp_ne_u16_e32 vcc_lo, 0x58, v2
	s_mov_b32 s1, -1
	s_and_b32 s3, vcc_lo, exec_lo
	s_and_not1_saveexec_b32 s8, s8
	s_cbranch_execz .LBB2_664
.LBB2_679:                              ;   in Loop: Header=BB2_569 Depth=2
	v_cmp_ne_u16_e32 vcc_lo, 0x46, v2
	s_and_not1_b32 s3, s3, exec_lo
	s_or_b32 s1, s1, exec_lo
	s_and_b32 s9, vcc_lo, exec_lo
	s_delay_alu instid0(SALU_CYCLE_1)
	s_or_b32 s3, s3, s9
	s_or_b32 exec_lo, exec_lo, s8
	s_and_saveexec_b32 s8, s3
	s_cbranch_execz .LBB2_566
.LBB2_680:                              ;   in Loop: Header=BB2_569 Depth=2
	v_add_co_u32 v0, vcc_lo, v40, v42
	v_add_co_ci_u32_e32 v1, vcc_lo, 0, v41, vcc_lo
	v_add_co_u32 v8, vcc_lo, v40, 1
	v_add_co_ci_u32_e32 v9, vcc_lo, 0, v41, vcc_lo
	v_cmp_ne_u16_e32 vcc_lo, 0, v2
	global_store_b8 v[0:1], v2, off
	v_dual_mov_b32 v2, v7 :: v_dual_mov_b32 v41, v9
	v_mov_b32_e32 v40, v8
	v_add_co_ci_u32_e32 v4, vcc_lo, 0, v4, vcc_lo
	s_and_not1_b32 s1, s1, exec_lo
	s_branch .LBB2_566
.LBB2_681:                              ;   in Loop: Header=BB2_569 Depth=2
	global_load_u8 v12, v[2:3], off offset:6
	s_mov_b32 s3, exec_lo
	s_waitcnt vmcnt(0)
	v_lshlrev_b32_e32 v12, 16, v12
	s_or_saveexec_b32 s8, s8
                                        ; implicit-def: $sgpr9
	s_delay_alu instid0(SALU_CYCLE_1)
	s_xor_b32 exec_lo, exec_lo, s8
	s_cbranch_execz .LBB2_623
.LBB2_682:                              ;   in Loop: Header=BB2_569 Depth=2
	v_cmp_eq_u32_e32 vcc_lo, 2, v8
	v_mov_b32_e32 v12, 0
	s_and_not1_b32 s3, s3, exec_lo
	s_mov_b32 s9, 0
	s_and_b32 s10, vcc_lo, exec_lo
	s_delay_alu instid0(SALU_CYCLE_1)
	s_or_b32 s3, s3, s10
	s_or_b32 exec_lo, exec_lo, s8
	v_mov_b32_e32 v16, s9
	s_and_saveexec_b32 s8, s3
	s_cbranch_execnz .LBB2_624
	s_branch .LBB2_625
.LBB2_683:                              ;   in Loop: Header=BB2_569 Depth=2
	s_mov_b32 s9, exec_lo
	v_cmpx_eq_u32_e32 2, v13
	s_cbranch_execz .LBB2_685
; %bb.684:                              ;   in Loop: Header=BB2_569 Depth=2
	global_load_u8 v8, v[2:3], off offset:5
	s_mov_b32 s3, exec_lo
	s_waitcnt vmcnt(0)
	v_lshlrev_b32_e32 v8, 8, v8
	s_delay_alu instid0(VALU_DEP_1)
	v_xor_b32_e32 v12, v8, v12
.LBB2_685:                              ;   in Loop: Header=BB2_569 Depth=2
	s_or_b32 exec_lo, exec_lo, s9
	s_delay_alu instid0(SALU_CYCLE_1)
	s_and_b32 s3, s3, exec_lo
                                        ; implicit-def: $vgpr13
	s_and_not1_saveexec_b32 s8, s8
	s_cbranch_execz .LBB2_627
.LBB2_686:                              ;   in Loop: Header=BB2_569 Depth=2
	v_cmp_eq_u32_e32 vcc_lo, 1, v13
	s_and_not1_b32 s3, s3, exec_lo
	s_and_b32 s9, vcc_lo, exec_lo
	s_delay_alu instid0(SALU_CYCLE_1)
	s_or_b32 s3, s3, s9
	s_or_b32 exec_lo, exec_lo, s8
	s_and_saveexec_b32 s8, s3
	s_cbranch_execnz .LBB2_628
	s_branch .LBB2_629
.LBB2_687:                              ;   in Loop: Header=BB2_569 Depth=2
	global_load_u8 v2, v[2:3], off offset:5
	s_mov_b32 s3, exec_lo
	s_waitcnt vmcnt(0)
	v_lshlrev_b32_e32 v8, 8, v2
	s_or_saveexec_b32 s8, s8
                                        ; implicit-def: $sgpr9
	s_delay_alu instid0(SALU_CYCLE_1)
	s_xor_b32 exec_lo, exec_lo, s8
	s_cbranch_execz .LBB2_633
.LBB2_688:                              ;   in Loop: Header=BB2_569 Depth=2
	v_cmp_eq_u32_e32 vcc_lo, 5, v11
	v_mov_b32_e32 v8, 0
	s_and_not1_b32 s3, s3, exec_lo
	s_mov_b32 s9, 0
	s_and_b32 s10, vcc_lo, exec_lo
	s_delay_alu instid0(SALU_CYCLE_1)
	s_or_b32 s3, s3, s10
	s_or_b32 exec_lo, exec_lo, s8
	v_mov_b32_e32 v2, s9
	s_and_saveexec_b32 s8, s3
	s_cbranch_execnz .LBB2_634
	s_branch .LBB2_635
.LBB2_689:                              ;   in Loop: Header=BB2_13 Depth=1
	s_or_b32 exec_lo, exec_lo, s6
	s_delay_alu instid0(SALU_CYCLE_1)
	s_mov_b32 s1, exec_lo
	v_cmpx_gt_i32_e64 v4, v96
	s_cbranch_execnz .LBB2_691
	s_branch .LBB2_695
.LBB2_690:                              ;   in Loop: Header=BB2_13 Depth=1
	v_mov_b32_e32 v2, 0x58
	v_mov_b32_e32 v4, 0
	s_mov_b32 s1, exec_lo
	s_delay_alu instid0(VALU_DEP_1)
	v_cmpx_gt_i32_e64 v4, v96
	s_cbranch_execz .LBB2_695
.LBB2_691:                              ;   in Loop: Header=BB2_13 Depth=1
	s_mov_b32 s6, exec_lo
	v_cmpx_lt_i32_e32 0, v4
	s_cbranch_execz .LBB2_694
; %bb.692:                              ;   in Loop: Header=BB2_13 Depth=1
	v_add_co_u32 v0, vcc_lo, v64, v42
	v_add_co_ci_u32_e32 v1, vcc_lo, 0, v65, vcc_lo
	s_mov_b64 s[2:3], 0
	s_mov_b32 s7, 0
	.p2align	6
.LBB2_693:                              ;   Parent Loop BB2_13 Depth=1
                                        ; =>  This Inner Loop Header: Depth=2
	s_delay_alu instid0(VALU_DEP_2) | instskip(NEXT) | instid1(VALU_DEP_2)
	v_add_co_u32 v5, vcc_lo, v0, s2
	v_add_co_ci_u32_e32 v6, vcc_lo, s3, v1, vcc_lo
	global_load_u8 v3, v[5:6], off
	v_add_co_u32 v5, vcc_lo, v68, s2
	s_add_u32 s2, s2, 1
	v_add_co_ci_u32_e32 v6, vcc_lo, s3, v69, vcc_lo
	v_cmp_eq_u32_e64 s0, s2, v4
	s_addc_u32 s3, s3, 0
	s_delay_alu instid0(VALU_DEP_1)
	s_or_b32 s7, s0, s7
	s_waitcnt vmcnt(0)
	global_store_b8 v[5:6], v3, off
	s_and_not1_b32 exec_lo, exec_lo, s7
	s_cbranch_execnz .LBB2_693
.LBB2_694:                              ;   in Loop: Header=BB2_13 Depth=1
	s_or_b32 exec_lo, exec_lo, s6
	v_mov_b32_e32 v96, v4
.LBB2_695:                              ;   in Loop: Header=BB2_13 Depth=1
	s_or_b32 exec_lo, exec_lo, s1
	v_and_b32_e32 v0, 0xff, v2
	s_mov_b32 s0, 0
	s_mov_b32 s1, exec_lo
                                        ; implicit-def: $sgpr7
                                        ; implicit-def: $sgpr6
                                        ; implicit-def: $sgpr2
                                        ; implicit-def: $sgpr3
	s_delay_alu instid0(VALU_DEP_1)
	v_cmpx_ne_u16_e32 0x58, v0
	s_xor_b32 s1, exec_lo, s1
; %bb.696:                              ;   in Loop: Header=BB2_13 Depth=1
	v_cmp_ne_u32_e32 vcc_lo, -8, v98
	s_mov_b32 s2, -8
	s_mov_b32 s3, 0
	s_mov_b32 s6, 11
	;; [unrolled: 1-line block ×3, first 2 shown]
	s_and_b32 s0, vcc_lo, exec_lo
                                        ; implicit-def: $vgpr98
; %bb.697:                              ;   in Loop: Header=BB2_13 Depth=1
	s_or_saveexec_b32 s1, s1
	v_dual_mov_b32 v2, s7 :: v_dual_mov_b32 v1, s6
	v_dual_mov_b32 v3, s2 :: v_dual_mov_b32 v0, s3
	s_xor_b32 exec_lo, exec_lo, s1
; %bb.698:                              ;   in Loop: Header=BB2_13 Depth=1
	v_cmp_ne_u32_e32 vcc_lo, 8, v98
	v_dual_mov_b32 v2, -8 :: v_dual_mov_b32 v1, 11
	v_dual_mov_b32 v3, 8 :: v_dual_mov_b32 v0, 0
	s_and_not1_b32 s0, s0, exec_lo
	s_and_b32 s2, vcc_lo, exec_lo
	s_delay_alu instid0(SALU_CYCLE_1)
	s_or_b32 s0, s0, s2
; %bb.699:                              ;   in Loop: Header=BB2_13 Depth=1
	s_or_b32 exec_lo, exec_lo, s1
	v_mov_b32_e32 v98, v3
	s_and_saveexec_b32 s1, s0
; %bb.700:                              ;   in Loop: Header=BB2_13 Depth=1
	v_dual_mov_b32 v1, 0 :: v_dual_mov_b32 v0, v97
	v_mov_b32_e32 v98, v2
; %bb.701:                              ;   in Loop: Header=BB2_13 Depth=1
	s_or_b32 exec_lo, exec_lo, s1
	s_mov_b32 s0, -1
	s_mov_b32 s1, exec_lo
	v_cmpx_gt_i32_e32 11, v1
; %bb.702:                              ;   in Loop: Header=BB2_13 Depth=1
	v_cmp_eq_u32_e32 vcc_lo, 0, v1
	s_or_not1_b32 s0, vcc_lo, exec_lo
; %bb.703:                              ;   in Loop: Header=BB2_13 Depth=1
	s_or_b32 exec_lo, exec_lo, s1
	v_mov_b32_e32 v97, v0
	s_or_not1_b32 s0, s0, exec_lo
.LBB2_704:                              ;   in Loop: Header=BB2_13 Depth=1
	s_or_b32 exec_lo, exec_lo, s5
	s_and_saveexec_b32 s1, s0
	s_cbranch_execz .LBB2_12
; %bb.705:                              ;   in Loop: Header=BB2_13 Depth=1
	ds_bpermute_b32 v97, v53, v97
	s_mov_b32 s0, -1
	s_mov_b32 s2, exec_lo
	s_waitcnt lgkmcnt(0)
	v_cmpx_ne_u32_e32 0, v97
	s_cbranch_execz .LBB2_11
; %bb.706:                              ;   in Loop: Header=BB2_13 Depth=1
	ds_bpermute_b32 v98, v53, v98
	s_waitcnt lgkmcnt(0)
	v_add_nc_u32_e32 v42, v98, v42
	s_delay_alu instid0(VALU_DEP_1) | instskip(SKIP_1) | instid1(VALU_DEP_1)
	v_cmp_gt_i32_e32 vcc_lo, 21, v42
	v_cmp_gt_i32_e64 s0, v42, v83
	s_or_b32 s0, vcc_lo, s0
	s_delay_alu instid0(SALU_CYCLE_1)
	s_or_not1_b32 s0, s0, exec_lo
	s_branch .LBB2_11
.LBB2_707:
	s_or_b32 exec_lo, exec_lo, s49
.LBB2_708:
	s_delay_alu instid0(SALU_CYCLE_1)
	s_or_b32 exec_lo, exec_lo, s40
	v_cmp_eq_u32_e32 vcc_lo, 0, v70
	s_and_b32 exec_lo, exec_lo, vcc_lo
	s_cbranch_execz .LBB2_710
; %bb.709:
	v_max_i32_e32 v0, 0, v96
	global_store_b32 v80, v0, s[56:57]
.LBB2_710:
	s_endpgm
	.section	.rodata,"a",@progbits
	.p2align	6, 0x0
	.amdhsa_kernel _Z22iterative_walks_kernelILi64EEvPjS0_PcS1_S1_S0_S0_PdP6loc_htS0_P11loc_ht_boolijS0_llliijS1_S1_S0_i
		.amdhsa_group_segment_fixed_size 0
		.amdhsa_private_segment_fixed_size 96
		.amdhsa_kernarg_size 432
		.amdhsa_user_sgpr_count 15
		.amdhsa_user_sgpr_dispatch_ptr 0
		.amdhsa_user_sgpr_queue_ptr 0
		.amdhsa_user_sgpr_kernarg_segment_ptr 1
		.amdhsa_user_sgpr_dispatch_id 0
		.amdhsa_user_sgpr_private_segment_size 0
		.amdhsa_wavefront_size32 1
		.amdhsa_uses_dynamic_stack 0
		.amdhsa_enable_private_segment 1
		.amdhsa_system_sgpr_workgroup_id_x 1
		.amdhsa_system_sgpr_workgroup_id_y 0
		.amdhsa_system_sgpr_workgroup_id_z 0
		.amdhsa_system_sgpr_workgroup_info 0
		.amdhsa_system_vgpr_workitem_id 0
		.amdhsa_next_free_vgpr 105
		.amdhsa_next_free_sgpr 62
		.amdhsa_reserve_vcc 1
		.amdhsa_float_round_mode_32 0
		.amdhsa_float_round_mode_16_64 0
		.amdhsa_float_denorm_mode_32 3
		.amdhsa_float_denorm_mode_16_64 3
		.amdhsa_dx10_clamp 1
		.amdhsa_ieee_mode 1
		.amdhsa_fp16_overflow 0
		.amdhsa_workgroup_processor_mode 1
		.amdhsa_memory_ordered 1
		.amdhsa_forward_progress 0
		.amdhsa_shared_vgpr_count 0
		.amdhsa_exception_fp_ieee_invalid_op 0
		.amdhsa_exception_fp_denorm_src 0
		.amdhsa_exception_fp_ieee_div_zero 0
		.amdhsa_exception_fp_ieee_overflow 0
		.amdhsa_exception_fp_ieee_underflow 0
		.amdhsa_exception_fp_ieee_inexact 0
		.amdhsa_exception_int_div_zero 0
	.end_amdhsa_kernel
	.section	.text._Z22iterative_walks_kernelILi64EEvPjS0_PcS1_S1_S0_S0_PdP6loc_htS0_P11loc_ht_boolijS0_llliijS1_S1_S0_i,"axG",@progbits,_Z22iterative_walks_kernelILi64EEvPjS0_PcS1_S1_S0_S0_PdP6loc_htS0_P11loc_ht_boolijS0_llliijS1_S1_S0_i,comdat
.Lfunc_end2:
	.size	_Z22iterative_walks_kernelILi64EEvPjS0_PcS1_S1_S0_S0_PdP6loc_htS0_P11loc_ht_boolijS0_llliijS1_S1_S0_i, .Lfunc_end2-_Z22iterative_walks_kernelILi64EEvPjS0_PcS1_S1_S0_S0_PdP6loc_htS0_P11loc_ht_boolijS0_llliijS1_S1_S0_i
                                        ; -- End function
	.section	.AMDGPU.csdata,"",@progbits
; Kernel info:
; codeLenInByte = 22524
; NumSgprs: 64
; NumVgprs: 105
; ScratchSize: 96
; MemoryBound: 0
; FloatMode: 240
; IeeeMode: 1
; LDSByteSize: 0 bytes/workgroup (compile time only)
; SGPRBlocks: 7
; VGPRBlocks: 13
; NumSGPRsForWavesPerEU: 64
; NumVGPRsForWavesPerEU: 105
; Occupancy: 12
; WaveLimiterHint : 1
; COMPUTE_PGM_RSRC2:SCRATCH_EN: 1
; COMPUTE_PGM_RSRC2:USER_SGPR: 15
; COMPUTE_PGM_RSRC2:TRAP_HANDLER: 0
; COMPUTE_PGM_RSRC2:TGID_X_EN: 1
; COMPUTE_PGM_RSRC2:TGID_Y_EN: 0
; COMPUTE_PGM_RSRC2:TGID_Z_EN: 0
; COMPUTE_PGM_RSRC2:TIDIG_COMP_CNT: 0
	.text
	.p2alignl 7, 3214868480
	.fill 96, 4, 3214868480
	.type	.str.2,@object                  ; @.str.2
	.section	.rodata.str1.1,"aMS",@progbits,1
.str.2:
	.asciz	"*****end reached, hashtable full*****\n"
	.size	.str.2, 39

	.type	.str.3,@object                  ; @.str.3
.str.3:
	.asciz	"*********ASSERTION FAILURE IN COUNT_MERS****"
	.size	.str.3, 45

	.type	.str.4,@object                  ; @.str.4
.str.4:
	.asciz	"******* ASSERTION FAILED IN sort_merbase************"
	.size	.str.4, 53

	.type	__hip_cuid_c637723925a6955c,@object ; @__hip_cuid_c637723925a6955c
	.section	.bss,"aw",@nobits
	.globl	__hip_cuid_c637723925a6955c
__hip_cuid_c637723925a6955c:
	.byte	0                               ; 0x0
	.size	__hip_cuid_c637723925a6955c, 1

	.ident	"AMD clang version 19.0.0git (https://github.com/RadeonOpenCompute/llvm-project roc-6.4.0 25133 c7fe45cf4b819c5991fe208aaa96edf142730f1d)"
	.section	".note.GNU-stack","",@progbits
	.addrsig
	.addrsig_sym __hip_cuid_c637723925a6955c
	.amdgpu_metadata
---
amdhsa.kernels:
  - .args:
      - .address_space:  global
        .offset:         0
        .size:           8
        .value_kind:     global_buffer
      - .address_space:  global
        .offset:         8
        .size:           8
        .value_kind:     global_buffer
      - .address_space:  global
        .offset:         16
        .size:           8
        .value_kind:     global_buffer
      - .address_space:  global
        .offset:         24
        .size:           8
        .value_kind:     global_buffer
      - .address_space:  global
        .offset:         32
        .size:           8
        .value_kind:     global_buffer
      - .address_space:  global
        .offset:         40
        .size:           8
        .value_kind:     global_buffer
      - .address_space:  global
        .offset:         48
        .size:           8
        .value_kind:     global_buffer
      - .address_space:  global
        .offset:         56
        .size:           8
        .value_kind:     global_buffer
      - .address_space:  global
        .offset:         64
        .size:           8
        .value_kind:     global_buffer
      - .address_space:  global
        .offset:         72
        .size:           8
        .value_kind:     global_buffer
      - .address_space:  global
        .offset:         80
        .size:           8
        .value_kind:     global_buffer
      - .offset:         88
        .size:           4
        .value_kind:     by_value
      - .offset:         92
        .size:           4
        .value_kind:     by_value
      - .address_space:  global
        .offset:         96
        .size:           8
        .value_kind:     global_buffer
      - .offset:         104
        .size:           8
        .value_kind:     by_value
      - .offset:         112
        .size:           8
        .value_kind:     by_value
      - .offset:         120
        .size:           8
        .value_kind:     by_value
      - .offset:         128
        .size:           4
        .value_kind:     by_value
      - .offset:         132
        .size:           4
        .value_kind:     by_value
      - .offset:         136
        .size:           4
        .value_kind:     by_value
      - .address_space:  global
        .offset:         144
        .size:           8
        .value_kind:     global_buffer
      - .address_space:  global
        .offset:         152
        .size:           8
        .value_kind:     global_buffer
      - .address_space:  global
        .offset:         160
        .size:           8
        .value_kind:     global_buffer
      - .offset:         168
        .size:           4
        .value_kind:     by_value
      - .offset:         176
        .size:           4
        .value_kind:     hidden_block_count_x
      - .offset:         180
        .size:           4
        .value_kind:     hidden_block_count_y
      - .offset:         184
        .size:           4
        .value_kind:     hidden_block_count_z
      - .offset:         188
        .size:           2
        .value_kind:     hidden_group_size_x
      - .offset:         190
        .size:           2
        .value_kind:     hidden_group_size_y
      - .offset:         192
        .size:           2
        .value_kind:     hidden_group_size_z
      - .offset:         194
        .size:           2
        .value_kind:     hidden_remainder_x
      - .offset:         196
        .size:           2
        .value_kind:     hidden_remainder_y
      - .offset:         198
        .size:           2
        .value_kind:     hidden_remainder_z
      - .offset:         216
        .size:           8
        .value_kind:     hidden_global_offset_x
      - .offset:         224
        .size:           8
        .value_kind:     hidden_global_offset_y
      - .offset:         232
        .size:           8
        .value_kind:     hidden_global_offset_z
      - .offset:         240
        .size:           2
        .value_kind:     hidden_grid_dims
      - .offset:         256
        .size:           8
        .value_kind:     hidden_hostcall_buffer
    .group_segment_fixed_size: 0
    .kernarg_segment_align: 8
    .kernarg_segment_size: 432
    .language:       OpenCL C
    .language_version:
      - 2
      - 0
    .max_flat_workgroup_size: 1024
    .name:           _Z22iterative_walks_kernelILi32EEvPjS0_PcS1_S1_S0_S0_PdP6loc_htS0_P11loc_ht_boolijS0_llliijS1_S1_S0_i
    .private_segment_fixed_size: 96
    .sgpr_count:     64
    .sgpr_spill_count: 0
    .symbol:         _Z22iterative_walks_kernelILi32EEvPjS0_PcS1_S1_S0_S0_PdP6loc_htS0_P11loc_ht_boolijS0_llliijS1_S1_S0_i.kd
    .uniform_work_group_size: 1
    .uses_dynamic_stack: false
    .vgpr_count:     105
    .vgpr_spill_count: 0
    .wavefront_size: 32
    .workgroup_processor_mode: 1
  - .args:
      - .address_space:  global
        .offset:         0
        .size:           8
        .value_kind:     global_buffer
      - .address_space:  global
        .offset:         8
        .size:           8
        .value_kind:     global_buffer
      - .address_space:  global
        .offset:         16
        .size:           8
        .value_kind:     global_buffer
      - .address_space:  global
        .offset:         24
        .size:           8
        .value_kind:     global_buffer
      - .address_space:  global
        .offset:         32
        .size:           8
        .value_kind:     global_buffer
      - .address_space:  global
        .offset:         40
        .size:           8
        .value_kind:     global_buffer
      - .address_space:  global
        .offset:         48
        .size:           8
        .value_kind:     global_buffer
      - .address_space:  global
        .offset:         56
        .size:           8
        .value_kind:     global_buffer
      - .address_space:  global
        .offset:         64
        .size:           8
        .value_kind:     global_buffer
      - .address_space:  global
        .offset:         72
        .size:           8
        .value_kind:     global_buffer
      - .address_space:  global
        .offset:         80
        .size:           8
        .value_kind:     global_buffer
      - .offset:         88
        .size:           4
        .value_kind:     by_value
      - .offset:         92
        .size:           4
        .value_kind:     by_value
      - .address_space:  global
        .offset:         96
        .size:           8
        .value_kind:     global_buffer
      - .offset:         104
        .size:           8
        .value_kind:     by_value
      - .offset:         112
        .size:           8
        .value_kind:     by_value
      - .offset:         120
        .size:           8
        .value_kind:     by_value
      - .offset:         128
        .size:           4
        .value_kind:     by_value
      - .offset:         132
        .size:           4
        .value_kind:     by_value
      - .offset:         136
        .size:           4
        .value_kind:     by_value
      - .address_space:  global
        .offset:         144
        .size:           8
        .value_kind:     global_buffer
      - .address_space:  global
        .offset:         152
        .size:           8
        .value_kind:     global_buffer
      - .address_space:  global
        .offset:         160
        .size:           8
        .value_kind:     global_buffer
      - .offset:         168
        .size:           4
        .value_kind:     by_value
      - .offset:         176
        .size:           4
        .value_kind:     hidden_block_count_x
      - .offset:         180
        .size:           4
        .value_kind:     hidden_block_count_y
      - .offset:         184
        .size:           4
        .value_kind:     hidden_block_count_z
      - .offset:         188
        .size:           2
        .value_kind:     hidden_group_size_x
      - .offset:         190
        .size:           2
        .value_kind:     hidden_group_size_y
      - .offset:         192
        .size:           2
        .value_kind:     hidden_group_size_z
      - .offset:         194
        .size:           2
        .value_kind:     hidden_remainder_x
      - .offset:         196
        .size:           2
        .value_kind:     hidden_remainder_y
      - .offset:         198
        .size:           2
        .value_kind:     hidden_remainder_z
      - .offset:         216
        .size:           8
        .value_kind:     hidden_global_offset_x
      - .offset:         224
        .size:           8
        .value_kind:     hidden_global_offset_y
      - .offset:         232
        .size:           8
        .value_kind:     hidden_global_offset_z
      - .offset:         240
        .size:           2
        .value_kind:     hidden_grid_dims
      - .offset:         256
        .size:           8
        .value_kind:     hidden_hostcall_buffer
    .group_segment_fixed_size: 0
    .kernarg_segment_align: 8
    .kernarg_segment_size: 432
    .language:       OpenCL C
    .language_version:
      - 2
      - 0
    .max_flat_workgroup_size: 1024
    .name:           _Z22iterative_walks_kernelILi64EEvPjS0_PcS1_S1_S0_S0_PdP6loc_htS0_P11loc_ht_boolijS0_llliijS1_S1_S0_i
    .private_segment_fixed_size: 96
    .sgpr_count:     64
    .sgpr_spill_count: 0
    .symbol:         _Z22iterative_walks_kernelILi64EEvPjS0_PcS1_S1_S0_S0_PdP6loc_htS0_P11loc_ht_boolijS0_llliijS1_S1_S0_i.kd
    .uniform_work_group_size: 1
    .uses_dynamic_stack: false
    .vgpr_count:     105
    .vgpr_spill_count: 0
    .wavefront_size: 32
    .workgroup_processor_mode: 1
amdhsa.target:   amdgcn-amd-amdhsa--gfx1100
amdhsa.version:
  - 1
  - 2
...

	.end_amdgpu_metadata
